;; amdgpu-corpus repo=ROCm/hipBLASLt kind=compiled arch=gfx1100 opt=O3
	.text
	.amdgcn_target "amdgcn-amd-amdhsa--gfx1100"
	.amdhsa_code_object_version 6
	.p2align	2                               ; -- Begin function __ockl_fprintf_append_string_n
	.type	__ockl_fprintf_append_string_n,@function
__ockl_fprintf_append_string_n:         ; @__ockl_fprintf_append_string_n
; %bb.0:
	s_waitcnt vmcnt(0) expcnt(0) lgkmcnt(0)
	v_dual_mov_b32 v8, v3 :: v_dual_mov_b32 v7, v2
	v_or_b32_e32 v2, 2, v0
	v_cmp_eq_u32_e32 vcc_lo, 0, v6
	v_mbcnt_lo_u32_b32 v33, -1, 0
	s_mov_b32 s11, 0
	s_mov_b32 s0, exec_lo
	v_cndmask_b32_e32 v0, v2, v0, vcc_lo
	v_cmpx_ne_u64_e32 0, v[7:8]
	s_xor_b32 s10, exec_lo, s0
	s_cbranch_execz .LBB0_86
; %bb.1:
	s_load_b64 s[2:3], s[8:9], 0x50
	v_dual_mov_b32 v11, 2 :: v_dual_and_b32 v6, 2, v0
	v_mov_b32_e32 v10, 0
	v_and_b32_e32 v0, -3, v0
	v_mov_b32_e32 v12, 1
	s_mov_b32 s12, 0
	s_branch .LBB0_3
.LBB0_2:                                ;   in Loop: Header=BB0_3 Depth=1
	s_or_b32 exec_lo, exec_lo, s1
	v_sub_co_u32 v4, vcc_lo, v4, v29
	v_sub_co_ci_u32_e32 v5, vcc_lo, v5, v30, vcc_lo
	v_add_co_u32 v7, s0, v7, v29
	s_delay_alu instid0(VALU_DEP_1) | instskip(NEXT) | instid1(VALU_DEP_3)
	v_add_co_ci_u32_e64 v8, s0, v8, v30, s0
	v_cmp_eq_u64_e32 vcc_lo, 0, v[4:5]
	s_or_b32 s12, vcc_lo, s12
	s_delay_alu instid0(SALU_CYCLE_1)
	s_and_not1_b32 exec_lo, exec_lo, s12
	s_cbranch_execz .LBB0_85
.LBB0_3:                                ; =>This Loop Header: Depth=1
                                        ;     Child Loop BB0_6 Depth 2
                                        ;     Child Loop BB0_14 Depth 2
	;; [unrolled: 1-line block ×11, first 2 shown]
	v_cmp_gt_u64_e32 vcc_lo, 56, v[4:5]
	s_mov_b32 s1, exec_lo
                                        ; implicit-def: $vgpr2_vgpr3
                                        ; implicit-def: $sgpr4
	v_dual_cndmask_b32 v30, 0, v5 :: v_dual_cndmask_b32 v29, 56, v4
	v_cmpx_gt_u64_e32 8, v[4:5]
	s_xor_b32 s1, exec_lo, s1
	s_cbranch_execz .LBB0_9
; %bb.4:                                ;   in Loop: Header=BB0_3 Depth=1
	s_waitcnt vmcnt(0)
	v_mov_b32_e32 v2, 0
	v_mov_b32_e32 v3, 0
	s_mov_b64 s[4:5], 0
	s_mov_b32 s6, exec_lo
	v_cmpx_ne_u64_e32 0, v[4:5]
	s_cbranch_execz .LBB0_8
; %bb.5:                                ;   in Loop: Header=BB0_3 Depth=1
	v_lshlrev_b64 v[13:14], 3, v[29:30]
	v_dual_mov_b32 v2, 0 :: v_dual_mov_b32 v15, v8
	v_dual_mov_b32 v3, 0 :: v_dual_mov_b32 v14, v7
	s_mov_b32 s7, 0
	.p2align	6
.LBB0_6:                                ;   Parent Loop BB0_3 Depth=1
                                        ; =>  This Inner Loop Header: Depth=2
	flat_load_u8 v9, v[14:15]
	v_mov_b32_e32 v17, s11
	v_add_co_u32 v14, vcc_lo, v14, 1
	v_add_co_ci_u32_e32 v15, vcc_lo, 0, v15, vcc_lo
	s_waitcnt vmcnt(0) lgkmcnt(0)
	v_and_b32_e32 v16, 0xffff, v9
	s_delay_alu instid0(VALU_DEP_1) | instskip(SKIP_3) | instid1(VALU_DEP_2)
	v_lshlrev_b64 v[16:17], s4, v[16:17]
	s_add_u32 s4, s4, 8
	s_addc_u32 s5, s5, 0
	v_cmp_eq_u32_e64 s0, s4, v13
	v_or_b32_e32 v3, v17, v3
	s_delay_alu instid0(VALU_DEP_3) | instskip(NEXT) | instid1(VALU_DEP_3)
	v_or_b32_e32 v2, v16, v2
	s_or_b32 s7, s0, s7
	s_delay_alu instid0(SALU_CYCLE_1)
	s_and_not1_b32 exec_lo, exec_lo, s7
	s_cbranch_execnz .LBB0_6
; %bb.7:                                ;   in Loop: Header=BB0_3 Depth=1
	s_or_b32 exec_lo, exec_lo, s7
.LBB0_8:                                ;   in Loop: Header=BB0_3 Depth=1
	s_delay_alu instid0(SALU_CYCLE_1)
	s_or_b32 exec_lo, exec_lo, s6
	s_mov_b32 s4, 0
.LBB0_9:                                ;   in Loop: Header=BB0_3 Depth=1
	s_or_saveexec_b32 s0, s1
	v_dual_mov_b32 v9, s4 :: v_dual_mov_b32 v26, v8
	v_mov_b32_e32 v25, v7
	s_xor_b32 exec_lo, exec_lo, s0
	s_cbranch_execz .LBB0_11
; %bb.10:                               ;   in Loop: Header=BB0_3 Depth=1
	s_waitcnt vmcnt(0)
	flat_load_b64 v[2:3], v[7:8]
	v_add_co_u32 v25, vcc_lo, v7, 8
	v_add_co_ci_u32_e32 v26, vcc_lo, 0, v8, vcc_lo
	s_waitcnt vmcnt(0) lgkmcnt(0)
	v_and_b32_e32 v9, 0xff, v3
	v_and_b32_e32 v13, 0xff00, v3
	;; [unrolled: 1-line block ×4, first 2 shown]
	v_or3_b32 v2, v2, 0, 0
	s_delay_alu instid0(VALU_DEP_4) | instskip(SKIP_1) | instid1(VALU_DEP_2)
	v_or_b32_e32 v13, v9, v13
	v_add_nc_u32_e32 v9, -8, v29
	v_or3_b32 v3, v13, v14, v3
.LBB0_11:                               ;   in Loop: Header=BB0_3 Depth=1
	s_or_b32 exec_lo, exec_lo, s0
                                        ; implicit-def: $vgpr13_vgpr14
                                        ; implicit-def: $sgpr1
	s_delay_alu instid0(SALU_CYCLE_1) | instskip(NEXT) | instid1(VALU_DEP_2)
	s_mov_b32 s0, exec_lo
	v_cmpx_gt_u32_e32 8, v9
	s_xor_b32 s6, exec_lo, s0
	s_cbranch_execz .LBB0_17
; %bb.12:                               ;   in Loop: Header=BB0_3 Depth=1
	v_mov_b32_e32 v13, 0
	v_mov_b32_e32 v14, 0
	s_mov_b32 s7, exec_lo
	v_cmpx_ne_u32_e32 0, v9
	s_cbranch_execz .LBB0_16
; %bb.13:                               ;   in Loop: Header=BB0_3 Depth=1
	v_mov_b32_e32 v13, 0
	v_mov_b32_e32 v14, 0
	s_mov_b64 s[0:1], 0
	s_mov_b32 s13, 0
	s_mov_b64 s[4:5], 0
	.p2align	6
.LBB0_14:                               ;   Parent Loop BB0_3 Depth=1
                                        ; =>  This Inner Loop Header: Depth=2
	s_delay_alu instid0(SALU_CYCLE_1)
	v_add_co_u32 v15, vcc_lo, v25, s4
	v_add_co_ci_u32_e32 v16, vcc_lo, s5, v26, vcc_lo
	s_add_u32 s4, s4, 1
	s_addc_u32 s5, s5, 0
	v_cmp_eq_u32_e32 vcc_lo, s4, v9
	flat_load_u8 v15, v[15:16]
	s_waitcnt vmcnt(0) lgkmcnt(0)
	v_dual_mov_b32 v16, s11 :: v_dual_and_b32 v15, 0xffff, v15
	s_delay_alu instid0(VALU_DEP_1) | instskip(SKIP_3) | instid1(VALU_DEP_1)
	v_lshlrev_b64 v[15:16], s0, v[15:16]
	s_add_u32 s0, s0, 8
	s_addc_u32 s1, s1, 0
	s_or_b32 s13, vcc_lo, s13
	v_or_b32_e32 v14, v16, v14
	s_delay_alu instid0(VALU_DEP_2)
	v_or_b32_e32 v13, v15, v13
	s_and_not1_b32 exec_lo, exec_lo, s13
	s_cbranch_execnz .LBB0_14
; %bb.15:                               ;   in Loop: Header=BB0_3 Depth=1
	s_or_b32 exec_lo, exec_lo, s13
.LBB0_16:                               ;   in Loop: Header=BB0_3 Depth=1
	s_delay_alu instid0(SALU_CYCLE_1)
	s_or_b32 exec_lo, exec_lo, s7
	s_mov_b32 s1, 0
                                        ; implicit-def: $vgpr9
.LBB0_17:                               ;   in Loop: Header=BB0_3 Depth=1
	s_or_saveexec_b32 s0, s6
	v_mov_b32_e32 v17, s1
	s_xor_b32 exec_lo, exec_lo, s0
	s_cbranch_execz .LBB0_19
; %bb.18:                               ;   in Loop: Header=BB0_3 Depth=1
	flat_load_b64 v[13:14], v[25:26]
	v_add_co_u32 v25, vcc_lo, v25, 8
	v_add_nc_u32_e32 v17, -8, v9
	v_add_co_ci_u32_e32 v26, vcc_lo, 0, v26, vcc_lo
	s_waitcnt vmcnt(0) lgkmcnt(0)
	v_and_b32_e32 v15, 0xff, v14
	v_and_b32_e32 v16, 0xff00, v14
	;; [unrolled: 1-line block ×4, first 2 shown]
	v_or3_b32 v13, v13, 0, 0
	s_delay_alu instid0(VALU_DEP_4) | instskip(NEXT) | instid1(VALU_DEP_1)
	v_or_b32_e32 v15, v15, v16
	v_or3_b32 v14, v15, v18, v14
.LBB0_19:                               ;   in Loop: Header=BB0_3 Depth=1
	s_or_b32 exec_lo, exec_lo, s0
                                        ; implicit-def: $sgpr1
	s_delay_alu instid0(SALU_CYCLE_1)
	s_mov_b32 s0, exec_lo
	v_cmpx_gt_u32_e32 8, v17
	s_xor_b32 s6, exec_lo, s0
	s_cbranch_execz .LBB0_25
; %bb.20:                               ;   in Loop: Header=BB0_3 Depth=1
	v_mov_b32_e32 v15, 0
	v_mov_b32_e32 v16, 0
	s_mov_b32 s7, exec_lo
	v_cmpx_ne_u32_e32 0, v17
	s_cbranch_execz .LBB0_24
; %bb.21:                               ;   in Loop: Header=BB0_3 Depth=1
	v_mov_b32_e32 v15, 0
	v_mov_b32_e32 v16, 0
	s_mov_b64 s[0:1], 0
	s_mov_b32 s13, 0
	s_mov_b64 s[4:5], 0
	.p2align	6
.LBB0_22:                               ;   Parent Loop BB0_3 Depth=1
                                        ; =>  This Inner Loop Header: Depth=2
	s_delay_alu instid0(SALU_CYCLE_1)
	v_add_co_u32 v18, vcc_lo, v25, s4
	v_add_co_ci_u32_e32 v19, vcc_lo, s5, v26, vcc_lo
	s_add_u32 s4, s4, 1
	s_addc_u32 s5, s5, 0
	v_cmp_eq_u32_e32 vcc_lo, s4, v17
	flat_load_u8 v9, v[18:19]
	s_waitcnt vmcnt(0) lgkmcnt(0)
	v_dual_mov_b32 v19, s11 :: v_dual_and_b32 v18, 0xffff, v9
	s_delay_alu instid0(VALU_DEP_1) | instskip(SKIP_3) | instid1(VALU_DEP_1)
	v_lshlrev_b64 v[18:19], s0, v[18:19]
	s_add_u32 s0, s0, 8
	s_addc_u32 s1, s1, 0
	s_or_b32 s13, vcc_lo, s13
	v_or_b32_e32 v16, v19, v16
	s_delay_alu instid0(VALU_DEP_2)
	v_or_b32_e32 v15, v18, v15
	s_and_not1_b32 exec_lo, exec_lo, s13
	s_cbranch_execnz .LBB0_22
; %bb.23:                               ;   in Loop: Header=BB0_3 Depth=1
	s_or_b32 exec_lo, exec_lo, s13
.LBB0_24:                               ;   in Loop: Header=BB0_3 Depth=1
	s_delay_alu instid0(SALU_CYCLE_1)
	s_or_b32 exec_lo, exec_lo, s7
	s_mov_b32 s1, 0
                                        ; implicit-def: $vgpr17
.LBB0_25:                               ;   in Loop: Header=BB0_3 Depth=1
	s_or_saveexec_b32 s0, s6
	v_mov_b32_e32 v9, s1
	s_xor_b32 exec_lo, exec_lo, s0
	s_cbranch_execz .LBB0_27
; %bb.26:                               ;   in Loop: Header=BB0_3 Depth=1
	flat_load_b64 v[15:16], v[25:26]
	v_add_co_u32 v25, vcc_lo, v25, 8
	v_add_co_ci_u32_e32 v26, vcc_lo, 0, v26, vcc_lo
	s_waitcnt vmcnt(0) lgkmcnt(0)
	v_and_b32_e32 v9, 0xff, v16
	v_and_b32_e32 v18, 0xff00, v16
	;; [unrolled: 1-line block ×4, first 2 shown]
	v_or3_b32 v15, v15, 0, 0
	s_delay_alu instid0(VALU_DEP_4) | instskip(SKIP_1) | instid1(VALU_DEP_2)
	v_or_b32_e32 v18, v9, v18
	v_add_nc_u32_e32 v9, -8, v17
	v_or3_b32 v16, v18, v19, v16
.LBB0_27:                               ;   in Loop: Header=BB0_3 Depth=1
	s_or_b32 exec_lo, exec_lo, s0
                                        ; implicit-def: $vgpr17_vgpr18
                                        ; implicit-def: $sgpr1
	s_delay_alu instid0(SALU_CYCLE_1) | instskip(NEXT) | instid1(VALU_DEP_1)
	s_mov_b32 s0, exec_lo
	v_cmpx_gt_u32_e32 8, v9
	s_xor_b32 s6, exec_lo, s0
	s_cbranch_execz .LBB0_33
; %bb.28:                               ;   in Loop: Header=BB0_3 Depth=1
	v_mov_b32_e32 v17, 0
	v_mov_b32_e32 v18, 0
	s_mov_b32 s7, exec_lo
	v_cmpx_ne_u32_e32 0, v9
	s_cbranch_execz .LBB0_32
; %bb.29:                               ;   in Loop: Header=BB0_3 Depth=1
	v_mov_b32_e32 v17, 0
	v_mov_b32_e32 v18, 0
	s_mov_b64 s[0:1], 0
	s_mov_b32 s13, 0
	s_mov_b64 s[4:5], 0
	.p2align	6
.LBB0_30:                               ;   Parent Loop BB0_3 Depth=1
                                        ; =>  This Inner Loop Header: Depth=2
	s_delay_alu instid0(SALU_CYCLE_1)
	v_add_co_u32 v19, vcc_lo, v25, s4
	v_add_co_ci_u32_e32 v20, vcc_lo, s5, v26, vcc_lo
	s_add_u32 s4, s4, 1
	s_addc_u32 s5, s5, 0
	v_cmp_eq_u32_e32 vcc_lo, s4, v9
	flat_load_u8 v19, v[19:20]
	s_waitcnt vmcnt(0) lgkmcnt(0)
	v_dual_mov_b32 v20, s11 :: v_dual_and_b32 v19, 0xffff, v19
	s_delay_alu instid0(VALU_DEP_1) | instskip(SKIP_3) | instid1(VALU_DEP_1)
	v_lshlrev_b64 v[19:20], s0, v[19:20]
	s_add_u32 s0, s0, 8
	s_addc_u32 s1, s1, 0
	s_or_b32 s13, vcc_lo, s13
	v_or_b32_e32 v18, v20, v18
	s_delay_alu instid0(VALU_DEP_2)
	v_or_b32_e32 v17, v19, v17
	s_and_not1_b32 exec_lo, exec_lo, s13
	s_cbranch_execnz .LBB0_30
; %bb.31:                               ;   in Loop: Header=BB0_3 Depth=1
	s_or_b32 exec_lo, exec_lo, s13
.LBB0_32:                               ;   in Loop: Header=BB0_3 Depth=1
	s_delay_alu instid0(SALU_CYCLE_1)
	s_or_b32 exec_lo, exec_lo, s7
	s_mov_b32 s1, 0
                                        ; implicit-def: $vgpr9
.LBB0_33:                               ;   in Loop: Header=BB0_3 Depth=1
	s_or_saveexec_b32 s0, s6
	v_mov_b32_e32 v21, s1
	s_xor_b32 exec_lo, exec_lo, s0
	s_cbranch_execz .LBB0_35
; %bb.34:                               ;   in Loop: Header=BB0_3 Depth=1
	flat_load_b64 v[17:18], v[25:26]
	v_add_co_u32 v25, vcc_lo, v25, 8
	v_add_nc_u32_e32 v21, -8, v9
	v_add_co_ci_u32_e32 v26, vcc_lo, 0, v26, vcc_lo
	s_waitcnt vmcnt(0) lgkmcnt(0)
	v_and_b32_e32 v19, 0xff, v18
	v_and_b32_e32 v20, 0xff00, v18
	;; [unrolled: 1-line block ×4, first 2 shown]
	v_or3_b32 v17, v17, 0, 0
	s_delay_alu instid0(VALU_DEP_4) | instskip(NEXT) | instid1(VALU_DEP_1)
	v_or_b32_e32 v19, v19, v20
	v_or3_b32 v18, v19, v22, v18
.LBB0_35:                               ;   in Loop: Header=BB0_3 Depth=1
	s_or_b32 exec_lo, exec_lo, s0
                                        ; implicit-def: $sgpr1
	s_delay_alu instid0(SALU_CYCLE_1)
	s_mov_b32 s0, exec_lo
	v_cmpx_gt_u32_e32 8, v21
	s_xor_b32 s6, exec_lo, s0
	s_cbranch_execz .LBB0_41
; %bb.36:                               ;   in Loop: Header=BB0_3 Depth=1
	v_mov_b32_e32 v19, 0
	v_mov_b32_e32 v20, 0
	s_mov_b32 s7, exec_lo
	v_cmpx_ne_u32_e32 0, v21
	s_cbranch_execz .LBB0_40
; %bb.37:                               ;   in Loop: Header=BB0_3 Depth=1
	v_mov_b32_e32 v19, 0
	v_mov_b32_e32 v20, 0
	s_mov_b64 s[0:1], 0
	s_mov_b32 s13, 0
	s_mov_b64 s[4:5], 0
	.p2align	6
.LBB0_38:                               ;   Parent Loop BB0_3 Depth=1
                                        ; =>  This Inner Loop Header: Depth=2
	s_delay_alu instid0(SALU_CYCLE_1)
	v_add_co_u32 v22, vcc_lo, v25, s4
	v_add_co_ci_u32_e32 v23, vcc_lo, s5, v26, vcc_lo
	s_add_u32 s4, s4, 1
	s_addc_u32 s5, s5, 0
	v_cmp_eq_u32_e32 vcc_lo, s4, v21
	flat_load_u8 v9, v[22:23]
	s_waitcnt vmcnt(0) lgkmcnt(0)
	v_dual_mov_b32 v23, s11 :: v_dual_and_b32 v22, 0xffff, v9
	s_delay_alu instid0(VALU_DEP_1) | instskip(SKIP_3) | instid1(VALU_DEP_1)
	v_lshlrev_b64 v[22:23], s0, v[22:23]
	s_add_u32 s0, s0, 8
	s_addc_u32 s1, s1, 0
	s_or_b32 s13, vcc_lo, s13
	v_or_b32_e32 v20, v23, v20
	s_delay_alu instid0(VALU_DEP_2)
	v_or_b32_e32 v19, v22, v19
	s_and_not1_b32 exec_lo, exec_lo, s13
	s_cbranch_execnz .LBB0_38
; %bb.39:                               ;   in Loop: Header=BB0_3 Depth=1
	s_or_b32 exec_lo, exec_lo, s13
.LBB0_40:                               ;   in Loop: Header=BB0_3 Depth=1
	s_delay_alu instid0(SALU_CYCLE_1)
	s_or_b32 exec_lo, exec_lo, s7
	s_mov_b32 s1, 0
                                        ; implicit-def: $vgpr21
.LBB0_41:                               ;   in Loop: Header=BB0_3 Depth=1
	s_or_saveexec_b32 s0, s6
	v_mov_b32_e32 v9, s1
	s_xor_b32 exec_lo, exec_lo, s0
	s_cbranch_execz .LBB0_43
; %bb.42:                               ;   in Loop: Header=BB0_3 Depth=1
	flat_load_b64 v[19:20], v[25:26]
	v_add_co_u32 v25, vcc_lo, v25, 8
	v_add_co_ci_u32_e32 v26, vcc_lo, 0, v26, vcc_lo
	s_waitcnt vmcnt(0) lgkmcnt(0)
	v_and_b32_e32 v9, 0xff, v20
	v_and_b32_e32 v22, 0xff00, v20
	;; [unrolled: 1-line block ×4, first 2 shown]
	v_or3_b32 v19, v19, 0, 0
	s_delay_alu instid0(VALU_DEP_4) | instskip(SKIP_1) | instid1(VALU_DEP_2)
	v_or_b32_e32 v22, v9, v22
	v_add_nc_u32_e32 v9, -8, v21
	v_or3_b32 v20, v22, v23, v20
.LBB0_43:                               ;   in Loop: Header=BB0_3 Depth=1
	s_or_b32 exec_lo, exec_lo, s0
                                        ; implicit-def: $vgpr21_vgpr22
                                        ; implicit-def: $sgpr1
	s_delay_alu instid0(SALU_CYCLE_1) | instskip(NEXT) | instid1(VALU_DEP_1)
	s_mov_b32 s0, exec_lo
	v_cmpx_gt_u32_e32 8, v9
	s_xor_b32 s6, exec_lo, s0
	s_cbranch_execz .LBB0_49
; %bb.44:                               ;   in Loop: Header=BB0_3 Depth=1
	v_mov_b32_e32 v21, 0
	v_mov_b32_e32 v22, 0
	s_mov_b32 s7, exec_lo
	v_cmpx_ne_u32_e32 0, v9
	s_cbranch_execz .LBB0_48
; %bb.45:                               ;   in Loop: Header=BB0_3 Depth=1
	v_mov_b32_e32 v21, 0
	v_mov_b32_e32 v22, 0
	s_mov_b64 s[0:1], 0
	s_mov_b32 s13, 0
	s_mov_b64 s[4:5], 0
	.p2align	6
.LBB0_46:                               ;   Parent Loop BB0_3 Depth=1
                                        ; =>  This Inner Loop Header: Depth=2
	s_delay_alu instid0(SALU_CYCLE_1)
	v_add_co_u32 v23, vcc_lo, v25, s4
	v_add_co_ci_u32_e32 v24, vcc_lo, s5, v26, vcc_lo
	s_add_u32 s4, s4, 1
	s_addc_u32 s5, s5, 0
	v_cmp_eq_u32_e32 vcc_lo, s4, v9
	flat_load_u8 v23, v[23:24]
	s_waitcnt vmcnt(0) lgkmcnt(0)
	v_dual_mov_b32 v24, s11 :: v_dual_and_b32 v23, 0xffff, v23
	s_delay_alu instid0(VALU_DEP_1) | instskip(SKIP_3) | instid1(VALU_DEP_1)
	v_lshlrev_b64 v[23:24], s0, v[23:24]
	s_add_u32 s0, s0, 8
	s_addc_u32 s1, s1, 0
	s_or_b32 s13, vcc_lo, s13
	v_or_b32_e32 v22, v24, v22
	s_delay_alu instid0(VALU_DEP_2)
	v_or_b32_e32 v21, v23, v21
	s_and_not1_b32 exec_lo, exec_lo, s13
	s_cbranch_execnz .LBB0_46
; %bb.47:                               ;   in Loop: Header=BB0_3 Depth=1
	s_or_b32 exec_lo, exec_lo, s13
.LBB0_48:                               ;   in Loop: Header=BB0_3 Depth=1
	s_delay_alu instid0(SALU_CYCLE_1)
	s_or_b32 exec_lo, exec_lo, s7
	s_mov_b32 s1, 0
                                        ; implicit-def: $vgpr9
.LBB0_49:                               ;   in Loop: Header=BB0_3 Depth=1
	s_or_saveexec_b32 s0, s6
	v_mov_b32_e32 v27, s1
	s_xor_b32 exec_lo, exec_lo, s0
	s_cbranch_execz .LBB0_51
; %bb.50:                               ;   in Loop: Header=BB0_3 Depth=1
	flat_load_b64 v[21:22], v[25:26]
	v_add_co_u32 v25, vcc_lo, v25, 8
	v_add_nc_u32_e32 v27, -8, v9
	v_add_co_ci_u32_e32 v26, vcc_lo, 0, v26, vcc_lo
	s_waitcnt vmcnt(0) lgkmcnt(0)
	v_and_b32_e32 v23, 0xff, v22
	v_and_b32_e32 v24, 0xff00, v22
	;; [unrolled: 1-line block ×4, first 2 shown]
	v_or3_b32 v21, v21, 0, 0
	s_delay_alu instid0(VALU_DEP_4) | instskip(NEXT) | instid1(VALU_DEP_1)
	v_or_b32_e32 v23, v23, v24
	v_or3_b32 v22, v23, v28, v22
.LBB0_51:                               ;   in Loop: Header=BB0_3 Depth=1
	s_or_b32 exec_lo, exec_lo, s0
	s_delay_alu instid0(SALU_CYCLE_1)
	s_mov_b32 s0, exec_lo
	v_cmpx_gt_u32_e32 8, v27
	s_xor_b32 s4, exec_lo, s0
	s_cbranch_execz .LBB0_57
; %bb.52:                               ;   in Loop: Header=BB0_3 Depth=1
	v_mov_b32_e32 v23, 0
	v_mov_b32_e32 v24, 0
	s_mov_b32 s5, exec_lo
	v_cmpx_ne_u32_e32 0, v27
	s_cbranch_execz .LBB0_56
; %bb.53:                               ;   in Loop: Header=BB0_3 Depth=1
	v_mov_b32_e32 v23, 0
	v_mov_b32_e32 v24, 0
	s_mov_b64 s[0:1], 0
	s_mov_b32 s6, 0
	.p2align	6
.LBB0_54:                               ;   Parent Loop BB0_3 Depth=1
                                        ; =>  This Inner Loop Header: Depth=2
	flat_load_u8 v9, v[25:26]
	v_dual_mov_b32 v32, s11 :: v_dual_add_nc_u32 v27, -1, v27
	v_add_co_u32 v25, vcc_lo, v25, 1
	v_add_co_ci_u32_e32 v26, vcc_lo, 0, v26, vcc_lo
	s_delay_alu instid0(VALU_DEP_3) | instskip(SKIP_2) | instid1(VALU_DEP_1)
	v_cmp_eq_u32_e32 vcc_lo, 0, v27
	s_waitcnt vmcnt(0) lgkmcnt(0)
	v_and_b32_e32 v31, 0xffff, v9
	v_lshlrev_b64 v[31:32], s0, v[31:32]
	s_add_u32 s0, s0, 8
	s_addc_u32 s1, s1, 0
	s_or_b32 s6, vcc_lo, s6
	s_delay_alu instid0(VALU_DEP_1) | instskip(NEXT) | instid1(VALU_DEP_2)
	v_or_b32_e32 v24, v32, v24
	v_or_b32_e32 v23, v31, v23
	s_and_not1_b32 exec_lo, exec_lo, s6
	s_cbranch_execnz .LBB0_54
; %bb.55:                               ;   in Loop: Header=BB0_3 Depth=1
	s_or_b32 exec_lo, exec_lo, s6
.LBB0_56:                               ;   in Loop: Header=BB0_3 Depth=1
	s_delay_alu instid0(SALU_CYCLE_1)
	s_or_b32 exec_lo, exec_lo, s5
                                        ; implicit-def: $vgpr25_vgpr26
.LBB0_57:                               ;   in Loop: Header=BB0_3 Depth=1
	s_and_not1_saveexec_b32 s0, s4
	s_cbranch_execz .LBB0_59
; %bb.58:                               ;   in Loop: Header=BB0_3 Depth=1
	flat_load_b64 v[23:24], v[25:26]
	s_waitcnt vmcnt(0) lgkmcnt(0)
	v_and_b32_e32 v9, 0xff, v24
	v_and_b32_e32 v25, 0xff00, v24
	;; [unrolled: 1-line block ×4, first 2 shown]
	v_or3_b32 v23, v23, 0, 0
	s_delay_alu instid0(VALU_DEP_4) | instskip(NEXT) | instid1(VALU_DEP_1)
	v_or_b32_e32 v9, v9, v25
	v_or3_b32 v24, v9, v26, v24
.LBB0_59:                               ;   in Loop: Header=BB0_3 Depth=1
	s_or_b32 exec_lo, exec_lo, s0
	v_readfirstlane_b32 s0, v33
	v_mov_b32_e32 v31, 0
	v_mov_b32_e32 v32, 0
	s_delay_alu instid0(VALU_DEP_3) | instskip(NEXT) | instid1(VALU_DEP_1)
	v_cmp_eq_u32_e64 s0, s0, v33
	s_and_saveexec_b32 s1, s0
	s_cbranch_execz .LBB0_65
; %bb.60:                               ;   in Loop: Header=BB0_3 Depth=1
	s_waitcnt lgkmcnt(0)
	global_load_b64 v[27:28], v10, s[2:3] offset:24 glc
	s_waitcnt vmcnt(0)
	buffer_gl1_inv
	buffer_gl0_inv
	s_clause 0x1
	global_load_b64 v[25:26], v10, s[2:3] offset:40
	global_load_b64 v[31:32], v10, s[2:3]
	s_mov_b32 s4, exec_lo
	s_waitcnt vmcnt(1)
	v_and_b32_e32 v9, v26, v28
	v_and_b32_e32 v25, v25, v27
	s_delay_alu instid0(VALU_DEP_2) | instskip(NEXT) | instid1(VALU_DEP_2)
	v_mul_lo_u32 v9, v9, 24
	v_mul_hi_u32 v26, v25, 24
	v_mul_lo_u32 v25, v25, 24
	s_delay_alu instid0(VALU_DEP_2) | instskip(SKIP_1) | instid1(VALU_DEP_2)
	v_add_nc_u32_e32 v9, v26, v9
	s_waitcnt vmcnt(0)
	v_add_co_u32 v25, vcc_lo, v31, v25
	s_delay_alu instid0(VALU_DEP_2)
	v_add_co_ci_u32_e32 v26, vcc_lo, v32, v9, vcc_lo
	global_load_b64 v[25:26], v[25:26], off glc
	s_waitcnt vmcnt(0)
	global_atomic_cmpswap_b64 v[31:32], v10, v[25:28], s[2:3] offset:24 glc
	s_waitcnt vmcnt(0)
	buffer_gl1_inv
	buffer_gl0_inv
	v_cmpx_ne_u64_e64 v[31:32], v[27:28]
	s_cbranch_execz .LBB0_64
; %bb.61:                               ;   in Loop: Header=BB0_3 Depth=1
	s_mov_b32 s5, 0
	.p2align	6
.LBB0_62:                               ;   Parent Loop BB0_3 Depth=1
                                        ; =>  This Inner Loop Header: Depth=2
	s_sleep 1
	s_clause 0x1
	global_load_b64 v[25:26], v10, s[2:3] offset:40
	global_load_b64 v[34:35], v10, s[2:3]
	v_dual_mov_b32 v27, v31 :: v_dual_mov_b32 v28, v32
	s_waitcnt vmcnt(1)
	s_delay_alu instid0(VALU_DEP_1) | instskip(SKIP_1) | instid1(VALU_DEP_1)
	v_and_b32_e32 v9, v25, v27
	s_waitcnt vmcnt(0)
	v_mad_u64_u32 v[31:32], null, v9, 24, v[34:35]
	s_delay_alu instid0(VALU_DEP_1) | instskip(NEXT) | instid1(VALU_DEP_1)
	v_dual_mov_b32 v9, v32 :: v_dual_and_b32 v34, v26, v28
	v_mad_u64_u32 v[25:26], null, v34, 24, v[9:10]
	s_delay_alu instid0(VALU_DEP_1)
	v_mov_b32_e32 v32, v25
	global_load_b64 v[25:26], v[31:32], off glc
	s_waitcnt vmcnt(0)
	global_atomic_cmpswap_b64 v[31:32], v10, v[25:28], s[2:3] offset:24 glc
	s_waitcnt vmcnt(0)
	buffer_gl1_inv
	buffer_gl0_inv
	v_cmp_eq_u64_e32 vcc_lo, v[31:32], v[27:28]
	s_or_b32 s5, vcc_lo, s5
	s_delay_alu instid0(SALU_CYCLE_1)
	s_and_not1_b32 exec_lo, exec_lo, s5
	s_cbranch_execnz .LBB0_62
; %bb.63:                               ;   in Loop: Header=BB0_3 Depth=1
	s_or_b32 exec_lo, exec_lo, s5
.LBB0_64:                               ;   in Loop: Header=BB0_3 Depth=1
	s_delay_alu instid0(SALU_CYCLE_1)
	s_or_b32 exec_lo, exec_lo, s4
.LBB0_65:                               ;   in Loop: Header=BB0_3 Depth=1
	s_delay_alu instid0(SALU_CYCLE_1)
	s_or_b32 exec_lo, exec_lo, s1
	s_waitcnt lgkmcnt(0)
	s_clause 0x1
	global_load_b64 v[34:35], v10, s[2:3] offset:40
	global_load_b128 v[25:28], v10, s[2:3]
	v_readfirstlane_b32 s4, v31
	v_readfirstlane_b32 s5, v32
	s_mov_b32 s1, exec_lo
	s_waitcnt vmcnt(1)
	v_readfirstlane_b32 s6, v34
	v_readfirstlane_b32 s7, v35
	s_delay_alu instid0(VALU_DEP_1) | instskip(NEXT) | instid1(SALU_CYCLE_1)
	s_and_b64 s[6:7], s[4:5], s[6:7]
	s_mul_i32 s13, s7, 24
	s_mul_hi_u32 s14, s6, 24
	s_mul_i32 s15, s6, 24
	s_add_i32 s14, s14, s13
	s_waitcnt vmcnt(0)
	v_add_co_u32 v31, vcc_lo, v25, s15
	v_add_co_ci_u32_e32 v32, vcc_lo, s14, v26, vcc_lo
	s_and_saveexec_b32 s13, s0
	s_cbranch_execz .LBB0_67
; %bb.66:                               ;   in Loop: Header=BB0_3 Depth=1
	v_mov_b32_e32 v9, s1
	global_store_b128 v[31:32], v[9:12], off offset:8
.LBB0_67:                               ;   in Loop: Header=BB0_3 Depth=1
	s_or_b32 exec_lo, exec_lo, s13
	v_cmp_lt_u64_e32 vcc_lo, 56, v[4:5]
	v_or_b32_e32 v9, 0, v1
	v_or_b32_e32 v34, v0, v6
	v_lshl_add_u32 v35, v29, 2, 28
	s_lshl_b64 s[6:7], s[6:7], 12
	s_delay_alu instid0(SALU_CYCLE_1) | instskip(NEXT) | instid1(VALU_DEP_1)
	v_add_co_u32 v27, s1, v27, s6
	v_add_co_ci_u32_e64 v28, s1, s7, v28, s1
	v_dual_cndmask_b32 v1, v9, v1 :: v_dual_cndmask_b32 v0, v34, v0
	v_and_b32_e32 v9, 0x1e0, v35
	v_lshlrev_b32_e32 v34, 6, v33
	v_readfirstlane_b32 s6, v27
	v_readfirstlane_b32 s7, v28
	s_delay_alu instid0(VALU_DEP_4)
	v_and_or_b32 v0, 0xffffff1f, v0, v9
	s_clause 0x3
	global_store_b128 v34, v[0:3], s[6:7]
	global_store_b128 v34, v[13:16], s[6:7] offset:16
	global_store_b128 v34, v[17:20], s[6:7] offset:32
	;; [unrolled: 1-line block ×3, first 2 shown]
	s_and_saveexec_b32 s1, s0
	s_cbranch_execz .LBB0_75
; %bb.68:                               ;   in Loop: Header=BB0_3 Depth=1
	s_clause 0x1
	global_load_b64 v[17:18], v10, s[2:3] offset:32 glc
	global_load_b64 v[0:1], v10, s[2:3] offset:40
	v_dual_mov_b32 v15, s4 :: v_dual_mov_b32 v16, s5
	s_waitcnt vmcnt(0)
	v_readfirstlane_b32 s6, v0
	v_readfirstlane_b32 s7, v1
	s_delay_alu instid0(VALU_DEP_1) | instskip(NEXT) | instid1(SALU_CYCLE_1)
	s_and_b64 s[6:7], s[6:7], s[4:5]
	s_mul_i32 s7, s7, 24
	s_mul_hi_u32 s13, s6, 24
	s_mul_i32 s6, s6, 24
	s_add_i32 s13, s13, s7
	v_add_co_u32 v13, vcc_lo, v25, s6
	v_add_co_ci_u32_e32 v14, vcc_lo, s13, v26, vcc_lo
	s_mov_b32 s6, exec_lo
	global_store_b64 v[13:14], v[17:18], off
	s_waitcnt_vscnt null, 0x0
	global_atomic_cmpswap_b64 v[2:3], v10, v[15:18], s[2:3] offset:32 glc
	s_waitcnt vmcnt(0)
	v_cmpx_ne_u64_e64 v[2:3], v[17:18]
	s_cbranch_execz .LBB0_71
; %bb.69:                               ;   in Loop: Header=BB0_3 Depth=1
	s_mov_b32 s7, 0
.LBB0_70:                               ;   Parent Loop BB0_3 Depth=1
                                        ; =>  This Inner Loop Header: Depth=2
	v_dual_mov_b32 v0, s4 :: v_dual_mov_b32 v1, s5
	s_sleep 1
	global_store_b64 v[13:14], v[2:3], off
	s_waitcnt_vscnt null, 0x0
	global_atomic_cmpswap_b64 v[0:1], v10, v[0:3], s[2:3] offset:32 glc
	s_waitcnt vmcnt(0)
	v_cmp_eq_u64_e32 vcc_lo, v[0:1], v[2:3]
	v_dual_mov_b32 v3, v1 :: v_dual_mov_b32 v2, v0
	s_or_b32 s7, vcc_lo, s7
	s_delay_alu instid0(SALU_CYCLE_1)
	s_and_not1_b32 exec_lo, exec_lo, s7
	s_cbranch_execnz .LBB0_70
.LBB0_71:                               ;   in Loop: Header=BB0_3 Depth=1
	s_or_b32 exec_lo, exec_lo, s6
	global_load_b64 v[0:1], v10, s[2:3] offset:16
	s_mov_b32 s7, exec_lo
	s_mov_b32 s6, exec_lo
	v_mbcnt_lo_u32_b32 v2, s7, 0
	s_delay_alu instid0(VALU_DEP_1)
	v_cmpx_eq_u32_e32 0, v2
	s_cbranch_execz .LBB0_73
; %bb.72:                               ;   in Loop: Header=BB0_3 Depth=1
	s_bcnt1_i32_b32 s7, s7
	s_delay_alu instid0(SALU_CYCLE_1)
	v_mov_b32_e32 v9, s7
	s_waitcnt vmcnt(0)
	global_atomic_add_u64 v[0:1], v[9:10], off offset:8
.LBB0_73:                               ;   in Loop: Header=BB0_3 Depth=1
	s_or_b32 exec_lo, exec_lo, s6
	s_waitcnt vmcnt(0)
	global_load_b64 v[2:3], v[0:1], off offset:16
	s_waitcnt vmcnt(0)
	v_cmp_eq_u64_e32 vcc_lo, 0, v[2:3]
	s_cbranch_vccnz .LBB0_75
; %bb.74:                               ;   in Loop: Header=BB0_3 Depth=1
	global_load_b32 v9, v[0:1], off offset:24
	s_waitcnt vmcnt(0)
	v_and_b32_e32 v0, 0xffffff, v9
	s_waitcnt_vscnt null, 0x0
	global_store_b64 v[2:3], v[9:10], off
	v_readfirstlane_b32 m0, v0
	s_sendmsg sendmsg(MSG_INTERRUPT)
.LBB0_75:                               ;   in Loop: Header=BB0_3 Depth=1
	s_or_b32 exec_lo, exec_lo, s1
	v_add_co_u32 v0, vcc_lo, v27, v34
	v_add_co_ci_u32_e32 v1, vcc_lo, 0, v28, vcc_lo
	s_branch .LBB0_79
	.p2align	6
.LBB0_76:                               ;   in Loop: Header=BB0_79 Depth=2
	s_or_b32 exec_lo, exec_lo, s1
	s_delay_alu instid0(VALU_DEP_1) | instskip(NEXT) | instid1(VALU_DEP_1)
	v_readfirstlane_b32 s1, v2
	s_cmp_eq_u32 s1, 0
	s_cbranch_scc1 .LBB0_78
; %bb.77:                               ;   in Loop: Header=BB0_79 Depth=2
	s_sleep 1
	s_cbranch_execnz .LBB0_79
	s_branch .LBB0_81
	.p2align	6
.LBB0_78:                               ;   in Loop: Header=BB0_3 Depth=1
	s_branch .LBB0_81
.LBB0_79:                               ;   Parent Loop BB0_3 Depth=1
                                        ; =>  This Inner Loop Header: Depth=2
	v_mov_b32_e32 v2, 1
	s_and_saveexec_b32 s1, s0
	s_cbranch_execz .LBB0_76
; %bb.80:                               ;   in Loop: Header=BB0_79 Depth=2
	global_load_b32 v2, v[31:32], off offset:20 glc
	s_waitcnt vmcnt(0)
	buffer_gl1_inv
	buffer_gl0_inv
	v_and_b32_e32 v2, 1, v2
	s_branch .LBB0_76
.LBB0_81:                               ;   in Loop: Header=BB0_3 Depth=1
	global_load_b128 v[0:3], v[0:1], off
	s_and_saveexec_b32 s1, s0
	s_cbranch_execz .LBB0_2
; %bb.82:                               ;   in Loop: Header=BB0_3 Depth=1
	s_clause 0x2
	global_load_b64 v[2:3], v10, s[2:3] offset:40
	global_load_b64 v[17:18], v10, s[2:3] offset:24 glc
	global_load_b64 v[15:16], v10, s[2:3]
	s_waitcnt vmcnt(2)
	v_add_co_u32 v9, vcc_lo, v2, 1
	v_add_co_ci_u32_e32 v19, vcc_lo, 0, v3, vcc_lo
	s_delay_alu instid0(VALU_DEP_2) | instskip(NEXT) | instid1(VALU_DEP_2)
	v_add_co_u32 v13, vcc_lo, v9, s4
	v_add_co_ci_u32_e32 v14, vcc_lo, s5, v19, vcc_lo
	s_delay_alu instid0(VALU_DEP_1) | instskip(SKIP_1) | instid1(VALU_DEP_1)
	v_cmp_eq_u64_e32 vcc_lo, 0, v[13:14]
	v_dual_cndmask_b32 v14, v14, v19 :: v_dual_cndmask_b32 v13, v13, v9
	v_and_b32_e32 v3, v14, v3
	s_delay_alu instid0(VALU_DEP_2) | instskip(NEXT) | instid1(VALU_DEP_2)
	v_and_b32_e32 v2, v13, v2
	v_mul_lo_u32 v3, v3, 24
	s_delay_alu instid0(VALU_DEP_2) | instskip(SKIP_1) | instid1(VALU_DEP_2)
	v_mul_hi_u32 v9, v2, 24
	v_mul_lo_u32 v2, v2, 24
	v_add_nc_u32_e32 v3, v9, v3
	s_waitcnt vmcnt(0)
	s_delay_alu instid0(VALU_DEP_2) | instskip(SKIP_1) | instid1(VALU_DEP_3)
	v_add_co_u32 v2, vcc_lo, v15, v2
	v_mov_b32_e32 v15, v17
	v_add_co_ci_u32_e32 v3, vcc_lo, v16, v3, vcc_lo
	v_mov_b32_e32 v16, v18
	global_store_b64 v[2:3], v[17:18], off
	s_waitcnt_vscnt null, 0x0
	global_atomic_cmpswap_b64 v[15:16], v10, v[13:16], s[2:3] offset:24 glc
	s_waitcnt vmcnt(0)
	v_cmp_ne_u64_e32 vcc_lo, v[15:16], v[17:18]
	s_and_b32 exec_lo, exec_lo, vcc_lo
	s_cbranch_execz .LBB0_2
; %bb.83:                               ;   in Loop: Header=BB0_3 Depth=1
	s_mov_b32 s0, 0
.LBB0_84:                               ;   Parent Loop BB0_3 Depth=1
                                        ; =>  This Inner Loop Header: Depth=2
	s_sleep 1
	global_store_b64 v[2:3], v[15:16], off
	s_waitcnt_vscnt null, 0x0
	global_atomic_cmpswap_b64 v[17:18], v10, v[13:16], s[2:3] offset:24 glc
	s_waitcnt vmcnt(0)
	v_cmp_eq_u64_e32 vcc_lo, v[17:18], v[15:16]
	v_dual_mov_b32 v15, v17 :: v_dual_mov_b32 v16, v18
	s_or_b32 s0, vcc_lo, s0
	s_delay_alu instid0(SALU_CYCLE_1)
	s_and_not1_b32 exec_lo, exec_lo, s0
	s_cbranch_execnz .LBB0_84
	s_branch .LBB0_2
.LBB0_85:
	s_or_b32 exec_lo, exec_lo, s12
                                        ; implicit-def: $vgpr0
                                        ; implicit-def: $vgpr33
                                        ; implicit-def: $vgpr1
.LBB0_86:
	s_and_not1_saveexec_b32 s1, s10
	s_cbranch_execz .LBB0_108
; %bb.87:
	s_load_b64 s[2:3], s[8:9], 0x50
	v_readfirstlane_b32 s0, v33
	v_mov_b32_e32 v8, 0
	v_mov_b32_e32 v9, 0
	s_delay_alu instid0(VALU_DEP_3) | instskip(NEXT) | instid1(VALU_DEP_1)
	v_cmp_eq_u32_e64 s0, s0, v33
	s_and_saveexec_b32 s4, s0
	s_cbranch_execz .LBB0_93
; %bb.88:
	s_waitcnt vmcnt(0)
	v_mov_b32_e32 v2, 0
	s_mov_b32 s5, exec_lo
	s_waitcnt lgkmcnt(0)
	global_load_b64 v[5:6], v2, s[2:3] offset:24 glc
	s_waitcnt vmcnt(0)
	buffer_gl1_inv
	buffer_gl0_inv
	s_clause 0x1
	global_load_b64 v[3:4], v2, s[2:3] offset:40
	global_load_b64 v[7:8], v2, s[2:3]
	s_waitcnt vmcnt(1)
	v_and_b32_e32 v3, v3, v5
	v_and_b32_e32 v4, v4, v6
	s_delay_alu instid0(VALU_DEP_2) | instskip(NEXT) | instid1(VALU_DEP_2)
	v_mul_hi_u32 v9, v3, 24
	v_mul_lo_u32 v4, v4, 24
	v_mul_lo_u32 v3, v3, 24
	s_delay_alu instid0(VALU_DEP_2) | instskip(SKIP_1) | instid1(VALU_DEP_2)
	v_add_nc_u32_e32 v4, v9, v4
	s_waitcnt vmcnt(0)
	v_add_co_u32 v3, vcc_lo, v7, v3
	s_delay_alu instid0(VALU_DEP_2)
	v_add_co_ci_u32_e32 v4, vcc_lo, v8, v4, vcc_lo
	global_load_b64 v[3:4], v[3:4], off glc
	s_waitcnt vmcnt(0)
	global_atomic_cmpswap_b64 v[8:9], v2, v[3:6], s[2:3] offset:24 glc
	s_waitcnt vmcnt(0)
	buffer_gl1_inv
	buffer_gl0_inv
	v_cmpx_ne_u64_e64 v[8:9], v[5:6]
	s_cbranch_execz .LBB0_92
; %bb.89:
	s_mov_b32 s6, 0
	.p2align	6
.LBB0_90:                               ; =>This Inner Loop Header: Depth=1
	s_sleep 1
	s_clause 0x1
	global_load_b64 v[3:4], v2, s[2:3] offset:40
	global_load_b64 v[10:11], v2, s[2:3]
	v_dual_mov_b32 v5, v8 :: v_dual_mov_b32 v6, v9
	s_waitcnt vmcnt(1)
	s_delay_alu instid0(VALU_DEP_1) | instskip(NEXT) | instid1(VALU_DEP_2)
	v_and_b32_e32 v3, v3, v5
	v_and_b32_e32 v4, v4, v6
	s_waitcnt vmcnt(0)
	s_delay_alu instid0(VALU_DEP_2) | instskip(NEXT) | instid1(VALU_DEP_1)
	v_mad_u64_u32 v[7:8], null, v3, 24, v[10:11]
	v_mov_b32_e32 v3, v8
	s_delay_alu instid0(VALU_DEP_1)
	v_mad_u64_u32 v[8:9], null, v4, 24, v[3:4]
	global_load_b64 v[3:4], v[7:8], off glc
	s_waitcnt vmcnt(0)
	global_atomic_cmpswap_b64 v[8:9], v2, v[3:6], s[2:3] offset:24 glc
	s_waitcnt vmcnt(0)
	buffer_gl1_inv
	buffer_gl0_inv
	v_cmp_eq_u64_e32 vcc_lo, v[8:9], v[5:6]
	s_or_b32 s6, vcc_lo, s6
	s_delay_alu instid0(SALU_CYCLE_1)
	s_and_not1_b32 exec_lo, exec_lo, s6
	s_cbranch_execnz .LBB0_90
; %bb.91:
	s_or_b32 exec_lo, exec_lo, s6
.LBB0_92:
	s_delay_alu instid0(SALU_CYCLE_1)
	s_or_b32 exec_lo, exec_lo, s5
.LBB0_93:
	s_delay_alu instid0(SALU_CYCLE_1)
	s_or_b32 exec_lo, exec_lo, s4
	s_waitcnt vmcnt(0)
	v_mov_b32_e32 v2, 0
	v_readfirstlane_b32 s4, v8
	v_readfirstlane_b32 s5, v9
	s_mov_b32 s8, exec_lo
	s_waitcnt lgkmcnt(0)
	s_clause 0x1
	global_load_b64 v[10:11], v2, s[2:3] offset:40
	global_load_b128 v[4:7], v2, s[2:3]
	s_waitcnt vmcnt(1)
	v_readfirstlane_b32 s6, v10
	v_readfirstlane_b32 s7, v11
	s_delay_alu instid0(VALU_DEP_1) | instskip(NEXT) | instid1(SALU_CYCLE_1)
	s_and_b64 s[6:7], s[4:5], s[6:7]
	s_mul_i32 s9, s7, 24
	s_mul_hi_u32 s10, s6, 24
	s_mul_i32 s11, s6, 24
	s_add_i32 s10, s10, s9
	s_waitcnt vmcnt(0)
	v_add_co_u32 v8, vcc_lo, v4, s11
	v_add_co_ci_u32_e32 v9, vcc_lo, s10, v5, vcc_lo
	s_and_saveexec_b32 s9, s0
	s_cbranch_execz .LBB0_95
; %bb.94:
	v_dual_mov_b32 v10, s8 :: v_dual_mov_b32 v11, v2
	v_dual_mov_b32 v12, 2 :: v_dual_mov_b32 v13, 1
	global_store_b128 v[8:9], v[10:13], off offset:8
.LBB0_95:
	s_or_b32 exec_lo, exec_lo, s9
	s_lshl_b64 s[6:7], s[6:7], 12
	s_mov_b32 s8, 0
	v_add_co_u32 v6, vcc_lo, v6, s6
	v_add_co_ci_u32_e32 v7, vcc_lo, s7, v7, vcc_lo
	s_mov_b32 s11, s8
	s_mov_b32 s9, s8
	;; [unrolled: 1-line block ×3, first 2 shown]
	v_and_or_b32 v0, 0xffffff1f, v0, 32
	v_dual_mov_b32 v3, v2 :: v_dual_lshlrev_b32 v14, 6, v33
	v_readfirstlane_b32 s6, v6
	v_readfirstlane_b32 s7, v7
	v_dual_mov_b32 v13, s11 :: v_dual_mov_b32 v12, s10
	v_dual_mov_b32 v11, s9 :: v_dual_mov_b32 v10, s8
	s_clause 0x3
	global_store_b128 v14, v[0:3], s[6:7]
	global_store_b128 v14, v[10:13], s[6:7] offset:16
	global_store_b128 v14, v[10:13], s[6:7] offset:32
	;; [unrolled: 1-line block ×3, first 2 shown]
	s_and_saveexec_b32 s6, s0
	s_cbranch_execz .LBB0_102
; %bb.96:
	v_mov_b32_e32 v6, 0
	s_mov_b32 s7, exec_lo
	s_clause 0x1
	global_load_b64 v[12:13], v6, s[2:3] offset:32 glc
	global_load_b64 v[0:1], v6, s[2:3] offset:40
	v_dual_mov_b32 v11, s5 :: v_dual_mov_b32 v10, s4
	s_waitcnt vmcnt(0)
	v_and_b32_e32 v1, s5, v1
	v_and_b32_e32 v0, s4, v0
	s_delay_alu instid0(VALU_DEP_2) | instskip(NEXT) | instid1(VALU_DEP_2)
	v_mul_lo_u32 v1, v1, 24
	v_mul_hi_u32 v2, v0, 24
	v_mul_lo_u32 v0, v0, 24
	s_delay_alu instid0(VALU_DEP_2) | instskip(NEXT) | instid1(VALU_DEP_2)
	v_add_nc_u32_e32 v1, v2, v1
	v_add_co_u32 v4, vcc_lo, v4, v0
	s_delay_alu instid0(VALU_DEP_2)
	v_add_co_ci_u32_e32 v5, vcc_lo, v5, v1, vcc_lo
	global_store_b64 v[4:5], v[12:13], off
	s_waitcnt_vscnt null, 0x0
	global_atomic_cmpswap_b64 v[2:3], v6, v[10:13], s[2:3] offset:32 glc
	s_waitcnt vmcnt(0)
	v_cmpx_ne_u64_e64 v[2:3], v[12:13]
	s_cbranch_execz .LBB0_98
.LBB0_97:                               ; =>This Inner Loop Header: Depth=1
	v_dual_mov_b32 v0, s4 :: v_dual_mov_b32 v1, s5
	s_sleep 1
	global_store_b64 v[4:5], v[2:3], off
	s_waitcnt_vscnt null, 0x0
	global_atomic_cmpswap_b64 v[0:1], v6, v[0:3], s[2:3] offset:32 glc
	s_waitcnt vmcnt(0)
	v_cmp_eq_u64_e32 vcc_lo, v[0:1], v[2:3]
	v_dual_mov_b32 v3, v1 :: v_dual_mov_b32 v2, v0
	s_or_b32 s8, vcc_lo, s8
	s_delay_alu instid0(SALU_CYCLE_1)
	s_and_not1_b32 exec_lo, exec_lo, s8
	s_cbranch_execnz .LBB0_97
.LBB0_98:
	s_or_b32 exec_lo, exec_lo, s7
	v_mov_b32_e32 v3, 0
	s_mov_b32 s8, exec_lo
	s_mov_b32 s7, exec_lo
	v_mbcnt_lo_u32_b32 v2, s8, 0
	global_load_b64 v[0:1], v3, s[2:3] offset:16
	v_cmpx_eq_u32_e32 0, v2
	s_cbranch_execz .LBB0_100
; %bb.99:
	s_bcnt1_i32_b32 s8, s8
	s_delay_alu instid0(SALU_CYCLE_1)
	v_mov_b32_e32 v2, s8
	s_waitcnt vmcnt(0)
	global_atomic_add_u64 v[0:1], v[2:3], off offset:8
.LBB0_100:
	s_or_b32 exec_lo, exec_lo, s7
	s_waitcnt vmcnt(0)
	global_load_b64 v[2:3], v[0:1], off offset:16
	s_waitcnt vmcnt(0)
	v_cmp_eq_u64_e32 vcc_lo, 0, v[2:3]
	s_cbranch_vccnz .LBB0_102
; %bb.101:
	global_load_b32 v0, v[0:1], off offset:24
	s_waitcnt vmcnt(0)
	v_dual_mov_b32 v1, 0 :: v_dual_and_b32 v4, 0xffffff, v0
	s_waitcnt_vscnt null, 0x0
	global_store_b64 v[2:3], v[0:1], off
	v_readfirstlane_b32 m0, v4
	s_sendmsg sendmsg(MSG_INTERRUPT)
.LBB0_102:
	s_or_b32 exec_lo, exec_lo, s6
	s_branch .LBB0_106
	.p2align	6
.LBB0_103:                              ;   in Loop: Header=BB0_106 Depth=1
	s_or_b32 exec_lo, exec_lo, s6
	s_delay_alu instid0(VALU_DEP_1) | instskip(NEXT) | instid1(VALU_DEP_1)
	v_readfirstlane_b32 s6, v0
	s_cmp_eq_u32 s6, 0
	s_cbranch_scc1 .LBB0_105
; %bb.104:                              ;   in Loop: Header=BB0_106 Depth=1
	s_sleep 1
	s_cbranch_execnz .LBB0_106
	s_branch .LBB0_109
	.p2align	6
.LBB0_105:
	s_branch .LBB0_109
.LBB0_106:                              ; =>This Inner Loop Header: Depth=1
	v_mov_b32_e32 v0, 1
	s_and_saveexec_b32 s6, s0
	s_cbranch_execz .LBB0_103
; %bb.107:                              ;   in Loop: Header=BB0_106 Depth=1
	global_load_b32 v0, v[8:9], off offset:20 glc
	s_waitcnt vmcnt(0)
	buffer_gl1_inv
	buffer_gl0_inv
	v_and_b32_e32 v0, 1, v0
	s_branch .LBB0_103
.LBB0_108:
	s_or_b32 exec_lo, exec_lo, s1
	s_waitcnt vmcnt(0) lgkmcnt(0)
	s_setpc_b64 s[30:31]
.LBB0_109:
	s_and_saveexec_b32 s6, s0
	s_cbranch_execz .LBB0_113
; %bb.110:
	v_mov_b32_e32 v6, 0
	s_clause 0x2
	global_load_b64 v[2:3], v6, s[2:3] offset:40
	global_load_b64 v[7:8], v6, s[2:3] offset:24 glc
	global_load_b64 v[4:5], v6, s[2:3]
	s_waitcnt vmcnt(2)
	v_add_co_u32 v9, vcc_lo, v2, 1
	v_add_co_ci_u32_e32 v10, vcc_lo, 0, v3, vcc_lo
	s_delay_alu instid0(VALU_DEP_2) | instskip(NEXT) | instid1(VALU_DEP_2)
	v_add_co_u32 v0, vcc_lo, v9, s4
	v_add_co_ci_u32_e32 v1, vcc_lo, s5, v10, vcc_lo
	s_delay_alu instid0(VALU_DEP_1) | instskip(SKIP_1) | instid1(VALU_DEP_1)
	v_cmp_eq_u64_e32 vcc_lo, 0, v[0:1]
	v_dual_cndmask_b32 v1, v1, v10 :: v_dual_cndmask_b32 v0, v0, v9
	v_and_b32_e32 v3, v1, v3
	s_delay_alu instid0(VALU_DEP_2) | instskip(NEXT) | instid1(VALU_DEP_2)
	v_and_b32_e32 v2, v0, v2
	v_mul_lo_u32 v3, v3, 24
	s_delay_alu instid0(VALU_DEP_2) | instskip(SKIP_1) | instid1(VALU_DEP_2)
	v_mul_hi_u32 v9, v2, 24
	v_mul_lo_u32 v2, v2, 24
	v_add_nc_u32_e32 v3, v9, v3
	s_waitcnt vmcnt(0)
	s_delay_alu instid0(VALU_DEP_2) | instskip(SKIP_1) | instid1(VALU_DEP_3)
	v_add_co_u32 v4, vcc_lo, v4, v2
	v_mov_b32_e32 v2, v7
	v_add_co_ci_u32_e32 v5, vcc_lo, v5, v3, vcc_lo
	v_mov_b32_e32 v3, v8
	global_store_b64 v[4:5], v[7:8], off
	s_waitcnt_vscnt null, 0x0
	global_atomic_cmpswap_b64 v[2:3], v6, v[0:3], s[2:3] offset:24 glc
	s_waitcnt vmcnt(0)
	v_cmp_ne_u64_e32 vcc_lo, v[2:3], v[7:8]
	s_and_b32 exec_lo, exec_lo, vcc_lo
	s_cbranch_execz .LBB0_113
; %bb.111:
	s_mov_b32 s0, 0
.LBB0_112:                              ; =>This Inner Loop Header: Depth=1
	s_sleep 1
	global_store_b64 v[4:5], v[2:3], off
	s_waitcnt_vscnt null, 0x0
	global_atomic_cmpswap_b64 v[7:8], v6, v[0:3], s[2:3] offset:24 glc
	s_waitcnt vmcnt(0)
	v_cmp_eq_u64_e32 vcc_lo, v[7:8], v[2:3]
	v_dual_mov_b32 v2, v7 :: v_dual_mov_b32 v3, v8
	s_or_b32 s0, vcc_lo, s0
	s_delay_alu instid0(SALU_CYCLE_1)
	s_and_not1_b32 exec_lo, exec_lo, s0
	s_cbranch_execnz .LBB0_112
.LBB0_113:
	s_or_b32 exec_lo, exec_lo, s6
	s_delay_alu instid0(SALU_CYCLE_1)
	s_or_b32 exec_lo, exec_lo, s1
	s_waitcnt lgkmcnt(0)
	s_setpc_b64 s[30:31]
.Lfunc_end0:
	.size	__ockl_fprintf_append_string_n, .Lfunc_end0-__ockl_fprintf_append_string_n
                                        ; -- End function
	.section	.AMDGPU.csdata,"",@progbits
; Function info:
; codeLenInByte = 4740
; NumSgprs: 34
; NumVgprs: 36
; ScratchSize: 0
; MemoryBound: 0
	.text
	.p2align	2                               ; -- Begin function __assert_fail
	.type	__assert_fail,@function
__assert_fail:                          ; @__assert_fail
; %bb.0:
	s_waitcnt vmcnt(0) expcnt(0) lgkmcnt(0)
	s_mov_b32 s20, s33
	s_mov_b32 s33, s32
	s_or_saveexec_b32 s0, -1
	scratch_store_b32 off, v40, s33 offset:48 ; 4-byte Folded Spill
	s_mov_b32 exec_lo, s0
	v_writelane_b32 v40, s30, 0
	s_add_i32 s32, s32, 64
	v_writelane_b32 v40, s31, 1
	s_getpc_b64 s[0:1]
	s_add_u32 s0, s0, __const.__assert_fail.fmt@rel32@lo+4
	s_addc_u32 s1, s1, __const.__assert_fail.fmt@rel32@hi+12
	s_getpc_b64 s[2:3]
	s_add_u32 s2, s2, __const.__assert_fail.fmt@rel32@lo+20
	s_addc_u32 s3, s3, __const.__assert_fail.fmt@rel32@hi+28
	v_mbcnt_lo_u32_b32 v35, -1, 0
	s_clause 0x1
	s_load_b128 s[4:7], s[0:1], 0x0
	s_load_b128 s[12:15], s[2:3], 0x0
	s_load_b64 s[2:3], s[8:9], 0x50
	v_dual_mov_b32 v5, v1 :: v_dual_mov_b32 v4, v0
	v_mov_b32_e32 v14, 0x73256020
	v_readfirstlane_b32 s0, v35
	v_mov_b32_e32 v0, 0
	v_dual_mov_b32 v2, 0 :: v_dual_mov_b32 v3, 0xa2e
	v_mov_b32_e32 v15, 0x61662027
	v_dual_mov_b32 v16, 0x64656c69 :: v_dual_mov_b32 v1, 0
	v_cmp_eq_u32_e64 s0, s0, v35
	s_waitcnt lgkmcnt(0)
	v_dual_mov_b32 v9, s7 :: v_dual_mov_b32 v8, s6
	v_dual_mov_b32 v7, s5 :: v_dual_mov_b32 v6, s4
	;; [unrolled: 1-line block ×4, first 2 shown]
	s_clause 0x4
	scratch_store_b128 off, v[6:9], s33
	scratch_store_b128 off, v[10:13], s33 offset:16
	scratch_store_b8 off, v2, s33 offset:46
	scratch_store_b16 off, v3, s33 offset:44
	scratch_store_b96 off, v[14:16], s33 offset:32
	s_and_saveexec_b32 s1, s0
	s_cbranch_execz .LBB1_6
; %bb.1:
	global_load_b64 v[8:9], v2, s[2:3] offset:24 glc
	s_waitcnt vmcnt(0)
	buffer_gl1_inv
	buffer_gl0_inv
	s_clause 0x1
	global_load_b64 v[0:1], v2, s[2:3] offset:40
	global_load_b64 v[6:7], v2, s[2:3]
	s_mov_b32 s4, exec_lo
	s_waitcnt vmcnt(1)
	v_and_b32_e32 v1, v1, v9
	v_and_b32_e32 v0, v0, v8
	s_delay_alu instid0(VALU_DEP_2) | instskip(NEXT) | instid1(VALU_DEP_2)
	v_mul_lo_u32 v1, v1, 24
	v_mul_hi_u32 v3, v0, 24
	v_mul_lo_u32 v0, v0, 24
	s_delay_alu instid0(VALU_DEP_2) | instskip(SKIP_1) | instid1(VALU_DEP_2)
	v_add_nc_u32_e32 v1, v3, v1
	s_waitcnt vmcnt(0)
	v_add_co_u32 v0, vcc_lo, v6, v0
	s_delay_alu instid0(VALU_DEP_2)
	v_add_co_ci_u32_e32 v1, vcc_lo, v7, v1, vcc_lo
	global_load_b64 v[6:7], v[0:1], off glc
	s_waitcnt vmcnt(0)
	global_atomic_cmpswap_b64 v[0:1], v2, v[6:9], s[2:3] offset:24 glc
	s_waitcnt vmcnt(0)
	buffer_gl1_inv
	buffer_gl0_inv
	v_cmpx_ne_u64_e64 v[0:1], v[8:9]
	s_cbranch_execz .LBB1_5
; %bb.2:
	s_mov_b32 s5, 0
	.p2align	6
.LBB1_3:                                ; =>This Inner Loop Header: Depth=1
	s_sleep 1
	s_clause 0x1
	global_load_b64 v[6:7], v2, s[2:3] offset:40
	global_load_b64 v[10:11], v2, s[2:3]
	v_dual_mov_b32 v9, v1 :: v_dual_mov_b32 v8, v0
	s_waitcnt vmcnt(1)
	s_delay_alu instid0(VALU_DEP_1) | instskip(SKIP_1) | instid1(VALU_DEP_1)
	v_and_b32_e32 v3, v6, v8
	s_waitcnt vmcnt(0)
	v_mad_u64_u32 v[0:1], null, v3, 24, v[10:11]
	v_and_b32_e32 v3, v7, v9
	s_delay_alu instid0(VALU_DEP_1) | instskip(NEXT) | instid1(VALU_DEP_1)
	v_mad_u64_u32 v[6:7], null, v3, 24, v[1:2]
	v_mov_b32_e32 v1, v6
	global_load_b64 v[6:7], v[0:1], off glc
	s_waitcnt vmcnt(0)
	global_atomic_cmpswap_b64 v[0:1], v2, v[6:9], s[2:3] offset:24 glc
	s_waitcnt vmcnt(0)
	buffer_gl1_inv
	buffer_gl0_inv
	v_cmp_eq_u64_e32 vcc_lo, v[0:1], v[8:9]
	s_or_b32 s5, vcc_lo, s5
	s_delay_alu instid0(SALU_CYCLE_1)
	s_and_not1_b32 exec_lo, exec_lo, s5
	s_cbranch_execnz .LBB1_3
; %bb.4:
	s_or_b32 exec_lo, exec_lo, s5
.LBB1_5:
	s_delay_alu instid0(SALU_CYCLE_1)
	s_or_b32 exec_lo, exec_lo, s4
.LBB1_6:
	s_delay_alu instid0(SALU_CYCLE_1)
	s_or_b32 exec_lo, exec_lo, s1
	s_clause 0x1
	global_load_b64 v[10:11], v2, s[2:3] offset:40
	global_load_b128 v[6:9], v2, s[2:3]
	v_readfirstlane_b32 s4, v0
	v_readfirstlane_b32 s5, v1
	s_mov_b32 s1, exec_lo
	s_waitcnt vmcnt(1)
	v_readfirstlane_b32 s6, v10
	v_readfirstlane_b32 s7, v11
	s_delay_alu instid0(VALU_DEP_1) | instskip(NEXT) | instid1(SALU_CYCLE_1)
	s_and_b64 s[6:7], s[4:5], s[6:7]
	s_mul_i32 s10, s7, 24
	s_mul_hi_u32 s11, s6, 24
	s_mul_i32 s12, s6, 24
	s_add_i32 s11, s11, s10
	s_waitcnt vmcnt(0)
	v_add_co_u32 v10, vcc_lo, v6, s12
	v_add_co_ci_u32_e32 v11, vcc_lo, s11, v7, vcc_lo
	s_and_saveexec_b32 s10, s0
	s_cbranch_execz .LBB1_8
; %bb.7:
	v_dual_mov_b32 v0, s1 :: v_dual_mov_b32 v1, 0
	v_dual_mov_b32 v2, 2 :: v_dual_mov_b32 v3, 1
	global_store_b128 v[10:11], v[0:3], off offset:8
.LBB1_8:
	s_or_b32 exec_lo, exec_lo, s10
	s_lshl_b64 s[6:7], s[6:7], 12
	v_dual_mov_b32 v1, 0 :: v_dual_lshlrev_b32 v34, 6, v35
	v_add_co_u32 v8, vcc_lo, v8, s6
	v_add_co_ci_u32_e32 v9, vcc_lo, s7, v9, vcc_lo
	s_mov_b32 s12, 0
	s_delay_alu instid0(VALU_DEP_2)
	v_add_co_u32 v12, vcc_lo, v8, v34
	s_mov_b32 s15, s12
	s_mov_b32 s13, s12
	;; [unrolled: 1-line block ×3, first 2 shown]
	v_dual_mov_b32 v0, 33 :: v_dual_mov_b32 v3, v1
	v_dual_mov_b32 v2, 1 :: v_dual_mov_b32 v17, s15
	v_readfirstlane_b32 s6, v8
	v_readfirstlane_b32 s7, v9
	v_add_co_ci_u32_e32 v13, vcc_lo, 0, v9, vcc_lo
	v_dual_mov_b32 v16, s14 :: v_dual_mov_b32 v15, s13
	v_mov_b32_e32 v14, s12
	s_clause 0x3
	global_store_b128 v34, v[0:3], s[6:7]
	global_store_b128 v34, v[14:17], s[6:7] offset:16
	global_store_b128 v34, v[14:17], s[6:7] offset:32
	;; [unrolled: 1-line block ×3, first 2 shown]
	s_and_saveexec_b32 s1, s0
	s_cbranch_execz .LBB1_16
; %bb.9:
	s_clause 0x1
	global_load_b64 v[16:17], v1, s[2:3] offset:32 glc
	global_load_b64 v[2:3], v1, s[2:3] offset:40
	v_mov_b32_e32 v14, s4
	s_mov_b32 s6, exec_lo
	s_waitcnt vmcnt(0)
	v_dual_mov_b32 v15, s5 :: v_dual_and_b32 v0, s5, v3
	v_and_b32_e32 v2, s4, v2
	s_delay_alu instid0(VALU_DEP_2) | instskip(NEXT) | instid1(VALU_DEP_2)
	v_mul_lo_u32 v0, v0, 24
	v_mul_hi_u32 v3, v2, 24
	v_mul_lo_u32 v2, v2, 24
	s_delay_alu instid0(VALU_DEP_2) | instskip(NEXT) | instid1(VALU_DEP_2)
	v_add_nc_u32_e32 v0, v3, v0
	v_add_co_u32 v2, vcc_lo, v6, v2
	s_delay_alu instid0(VALU_DEP_2)
	v_add_co_ci_u32_e32 v3, vcc_lo, v7, v0, vcc_lo
	global_store_b64 v[2:3], v[16:17], off
	s_waitcnt_vscnt null, 0x0
	global_atomic_cmpswap_b64 v[8:9], v1, v[14:17], s[2:3] offset:32 glc
	s_waitcnt vmcnt(0)
	v_cmpx_ne_u64_e64 v[8:9], v[16:17]
	s_cbranch_execz .LBB1_12
; %bb.10:
	s_mov_b32 s7, 0
.LBB1_11:                               ; =>This Inner Loop Header: Depth=1
	v_dual_mov_b32 v6, s4 :: v_dual_mov_b32 v7, s5
	s_sleep 1
	global_store_b64 v[2:3], v[8:9], off
	s_waitcnt_vscnt null, 0x0
	global_atomic_cmpswap_b64 v[6:7], v1, v[6:9], s[2:3] offset:32 glc
	s_waitcnt vmcnt(0)
	v_cmp_eq_u64_e32 vcc_lo, v[6:7], v[8:9]
	v_dual_mov_b32 v9, v7 :: v_dual_mov_b32 v8, v6
	s_or_b32 s7, vcc_lo, s7
	s_delay_alu instid0(SALU_CYCLE_1)
	s_and_not1_b32 exec_lo, exec_lo, s7
	s_cbranch_execnz .LBB1_11
.LBB1_12:
	s_or_b32 exec_lo, exec_lo, s6
	v_mov_b32_e32 v3, 0
	s_mov_b32 s7, exec_lo
	s_mov_b32 s6, exec_lo
	v_mbcnt_lo_u32_b32 v2, s7, 0
	global_load_b64 v[0:1], v3, s[2:3] offset:16
	v_cmpx_eq_u32_e32 0, v2
	s_cbranch_execz .LBB1_14
; %bb.13:
	s_bcnt1_i32_b32 s7, s7
	s_delay_alu instid0(SALU_CYCLE_1)
	v_mov_b32_e32 v2, s7
	s_waitcnt vmcnt(0)
	global_atomic_add_u64 v[0:1], v[2:3], off offset:8
.LBB1_14:
	s_or_b32 exec_lo, exec_lo, s6
	s_waitcnt vmcnt(0)
	global_load_b64 v[2:3], v[0:1], off offset:16
	s_waitcnt vmcnt(0)
	v_cmp_eq_u64_e32 vcc_lo, 0, v[2:3]
	s_cbranch_vccnz .LBB1_16
; %bb.15:
	global_load_b32 v0, v[0:1], off offset:24
	s_waitcnt vmcnt(0)
	v_dual_mov_b32 v1, 0 :: v_dual_and_b32 v6, 0xffffff, v0
	s_waitcnt_vscnt null, 0x0
	global_store_b64 v[2:3], v[0:1], off
	v_readfirstlane_b32 m0, v6
	s_sendmsg sendmsg(MSG_INTERRUPT)
.LBB1_16:
	s_or_b32 exec_lo, exec_lo, s1
	s_branch .LBB1_20
	.p2align	6
.LBB1_17:                               ;   in Loop: Header=BB1_20 Depth=1
	s_or_b32 exec_lo, exec_lo, s1
	s_delay_alu instid0(VALU_DEP_1) | instskip(NEXT) | instid1(VALU_DEP_1)
	v_readfirstlane_b32 s1, v0
	s_cmp_eq_u32 s1, 0
	s_cbranch_scc1 .LBB1_19
; %bb.18:                               ;   in Loop: Header=BB1_20 Depth=1
	s_sleep 1
	s_cbranch_execnz .LBB1_20
	s_branch .LBB1_22
	.p2align	6
.LBB1_19:
	s_branch .LBB1_22
.LBB1_20:                               ; =>This Inner Loop Header: Depth=1
	v_mov_b32_e32 v0, 1
	s_and_saveexec_b32 s1, s0
	s_cbranch_execz .LBB1_17
; %bb.21:                               ;   in Loop: Header=BB1_20 Depth=1
	global_load_b32 v0, v[10:11], off offset:20 glc
	s_waitcnt vmcnt(0)
	buffer_gl1_inv
	buffer_gl0_inv
	v_and_b32_e32 v0, 1, v0
	s_branch .LBB1_17
.LBB1_22:
	global_load_b64 v[6:7], v[12:13], off
	s_and_saveexec_b32 s1, s0
	s_cbranch_execz .LBB1_26
; %bb.23:
	v_mov_b32_e32 v10, 0
	s_clause 0x2
	global_load_b64 v[2:3], v10, s[2:3] offset:40
	global_load_b64 v[11:12], v10, s[2:3] offset:24 glc
	global_load_b64 v[8:9], v10, s[2:3]
	s_waitcnt vmcnt(2)
	v_add_co_u32 v13, vcc_lo, v2, 1
	v_add_co_ci_u32_e32 v14, vcc_lo, 0, v3, vcc_lo
	s_delay_alu instid0(VALU_DEP_2) | instskip(NEXT) | instid1(VALU_DEP_2)
	v_add_co_u32 v0, vcc_lo, v13, s4
	v_add_co_ci_u32_e32 v1, vcc_lo, s5, v14, vcc_lo
	s_delay_alu instid0(VALU_DEP_1) | instskip(SKIP_1) | instid1(VALU_DEP_1)
	v_cmp_eq_u64_e32 vcc_lo, 0, v[0:1]
	v_dual_cndmask_b32 v1, v1, v14 :: v_dual_cndmask_b32 v0, v0, v13
	v_and_b32_e32 v3, v1, v3
	s_delay_alu instid0(VALU_DEP_2) | instskip(NEXT) | instid1(VALU_DEP_2)
	v_and_b32_e32 v2, v0, v2
	v_mul_lo_u32 v3, v3, 24
	s_delay_alu instid0(VALU_DEP_2) | instskip(SKIP_1) | instid1(VALU_DEP_2)
	v_mul_hi_u32 v13, v2, 24
	v_mul_lo_u32 v2, v2, 24
	v_add_nc_u32_e32 v3, v13, v3
	s_waitcnt vmcnt(0)
	s_delay_alu instid0(VALU_DEP_2) | instskip(SKIP_1) | instid1(VALU_DEP_3)
	v_add_co_u32 v8, vcc_lo, v8, v2
	v_mov_b32_e32 v2, v11
	v_add_co_ci_u32_e32 v9, vcc_lo, v9, v3, vcc_lo
	v_mov_b32_e32 v3, v12
	global_store_b64 v[8:9], v[11:12], off
	s_waitcnt_vscnt null, 0x0
	global_atomic_cmpswap_b64 v[2:3], v10, v[0:3], s[2:3] offset:24 glc
	s_waitcnt vmcnt(0)
	v_cmp_ne_u64_e32 vcc_lo, v[2:3], v[11:12]
	s_and_b32 exec_lo, exec_lo, vcc_lo
	s_cbranch_execz .LBB1_26
; %bb.24:
	s_mov_b32 s0, 0
.LBB1_25:                               ; =>This Inner Loop Header: Depth=1
	s_sleep 1
	global_store_b64 v[8:9], v[2:3], off
	s_waitcnt_vscnt null, 0x0
	global_atomic_cmpswap_b64 v[11:12], v10, v[0:3], s[2:3] offset:24 glc
	s_waitcnt vmcnt(0)
	v_cmp_eq_u64_e32 vcc_lo, v[11:12], v[2:3]
	v_dual_mov_b32 v2, v11 :: v_dual_mov_b32 v3, v12
	s_or_b32 s0, vcc_lo, s0
	s_delay_alu instid0(SALU_CYCLE_1)
	s_and_not1_b32 exec_lo, exec_lo, s0
	s_cbranch_execnz .LBB1_25
.LBB1_26:
	s_or_b32 exec_lo, exec_lo, s1
	v_mov_b32_e32 v1, s33
	s_mov_b32 s0, 0
.LBB1_27:                               ; =>This Inner Loop Header: Depth=1
	scratch_load_u8 v2, v1, off
	v_add_nc_u32_e32 v0, 1, v1
	s_delay_alu instid0(VALU_DEP_1) | instskip(SKIP_3) | instid1(SALU_CYCLE_1)
	v_mov_b32_e32 v1, v0
	s_waitcnt vmcnt(0)
	v_cmp_eq_u16_e32 vcc_lo, 0, v2
	s_or_b32 s0, vcc_lo, s0
	s_and_not1_b32 exec_lo, exec_lo, s0
	s_cbranch_execnz .LBB1_27
; %bb.28:
	s_or_b32 exec_lo, exec_lo, s0
	v_cmp_ne_u32_e64 s0, -1, s33
	s_delay_alu instid0(VALU_DEP_1)
	s_and_b32 vcc_lo, exec_lo, s0
	s_cbranch_vccz .LBB1_113
; %bb.29:
	v_subrev_nc_u32_e32 v28, s33, v0
	v_dual_mov_b32 v9, 0 :: v_dual_and_b32 v36, 2, v6
	v_dual_mov_b32 v1, v7 :: v_dual_and_b32 v0, -3, v6
	s_delay_alu instid0(VALU_DEP_3)
	v_ashrrev_i32_e32 v29, 31, v28
	v_dual_mov_b32 v37, s33 :: v_dual_mov_b32 v10, 2
	v_mov_b32_e32 v11, 1
	s_mov_b32 s11, 0
	s_mov_b32 s10, 0
	s_branch .LBB1_31
.LBB1_30:                               ;   in Loop: Header=BB1_31 Depth=1
	s_or_b32 exec_lo, exec_lo, s1
	v_sub_co_u32 v28, vcc_lo, v28, v30
	v_sub_co_ci_u32_e32 v29, vcc_lo, v29, v31, vcc_lo
	v_add_nc_u32_e32 v37, v37, v30
	s_delay_alu instid0(VALU_DEP_2) | instskip(SKIP_1) | instid1(SALU_CYCLE_1)
	v_cmp_eq_u64_e32 vcc_lo, 0, v[28:29]
	s_or_b32 s10, vcc_lo, s10
	s_and_not1_b32 exec_lo, exec_lo, s10
	s_cbranch_execz .LBB1_114
.LBB1_31:                               ; =>This Loop Header: Depth=1
                                        ;     Child Loop BB1_34 Depth 2
                                        ;     Child Loop BB1_42 Depth 2
	;; [unrolled: 1-line block ×11, first 2 shown]
	v_cmp_gt_u64_e32 vcc_lo, 56, v[28:29]
	s_mov_b32 s4, exec_lo
                                        ; implicit-def: $vgpr2_vgpr3
                                        ; implicit-def: $sgpr1
	v_dual_cndmask_b32 v31, 0, v29 :: v_dual_cndmask_b32 v30, 56, v28
	v_cmpx_gt_u64_e32 8, v[28:29]
	s_xor_b32 s4, exec_lo, s4
	s_cbranch_execz .LBB1_37
; %bb.32:                               ;   in Loop: Header=BB1_31 Depth=1
	s_waitcnt vmcnt(0)
	v_mov_b32_e32 v2, 0
	v_mov_b32_e32 v3, 0
	s_mov_b64 s[0:1], 0
	s_mov_b32 s5, exec_lo
	v_cmpx_ne_u64_e32 0, v[28:29]
	s_cbranch_execz .LBB1_36
; %bb.33:                               ;   in Loop: Header=BB1_31 Depth=1
	v_lshlrev_b64 v[12:13], 3, v[30:31]
	v_mov_b32_e32 v2, 0
	v_dual_mov_b32 v3, 0 :: v_dual_mov_b32 v8, v37
	s_mov_b32 s6, 0
.LBB1_34:                               ;   Parent Loop BB1_31 Depth=1
                                        ; =>  This Inner Loop Header: Depth=2
	scratch_load_u8 v13, v8, off
	v_mov_b32_e32 v14, s11
	v_add_nc_u32_e32 v8, 1, v8
	s_waitcnt vmcnt(0)
	v_and_b32_e32 v13, 0xffff, v13
	s_delay_alu instid0(VALU_DEP_1) | instskip(SKIP_3) | instid1(VALU_DEP_2)
	v_lshlrev_b64 v[13:14], s0, v[13:14]
	s_add_u32 s0, s0, 8
	s_addc_u32 s1, s1, 0
	v_cmp_eq_u32_e32 vcc_lo, s0, v12
	v_or_b32_e32 v3, v14, v3
	s_delay_alu instid0(VALU_DEP_3) | instskip(SKIP_1) | instid1(SALU_CYCLE_1)
	v_or_b32_e32 v2, v13, v2
	s_or_b32 s6, vcc_lo, s6
	s_and_not1_b32 exec_lo, exec_lo, s6
	s_cbranch_execnz .LBB1_34
; %bb.35:                               ;   in Loop: Header=BB1_31 Depth=1
	s_or_b32 exec_lo, exec_lo, s6
.LBB1_36:                               ;   in Loop: Header=BB1_31 Depth=1
	s_delay_alu instid0(SALU_CYCLE_1)
	s_or_b32 exec_lo, exec_lo, s5
	s_mov_b32 s1, 0
.LBB1_37:                               ;   in Loop: Header=BB1_31 Depth=1
	s_or_saveexec_b32 s0, s4
	v_mov_b32_e32 v14, s1
	v_mov_b32_e32 v8, v37
	s_xor_b32 exec_lo, exec_lo, s0
	s_cbranch_execz .LBB1_39
; %bb.38:                               ;   in Loop: Header=BB1_31 Depth=1
	scratch_load_b64 v[2:3], v37, off
	v_add_nc_u32_e32 v14, -8, v30
	s_waitcnt vmcnt(0)
	v_and_b32_e32 v8, 0xff, v3
	v_and_b32_e32 v12, 0xff00, v3
	;; [unrolled: 1-line block ×4, first 2 shown]
	v_or3_b32 v2, v2, 0, 0
	s_delay_alu instid0(VALU_DEP_4) | instskip(NEXT) | instid1(VALU_DEP_1)
	v_or_b32_e32 v8, v8, v12
	v_or3_b32 v3, v8, v13, v3
	v_add_nc_u32_e32 v8, 8, v37
.LBB1_39:                               ;   in Loop: Header=BB1_31 Depth=1
	s_or_b32 exec_lo, exec_lo, s0
                                        ; implicit-def: $vgpr12_vgpr13
                                        ; implicit-def: $sgpr1
	s_delay_alu instid0(SALU_CYCLE_1)
	s_mov_b32 s0, exec_lo
	v_cmpx_gt_u32_e32 8, v14
	s_xor_b32 s4, exec_lo, s0
	s_cbranch_execz .LBB1_45
; %bb.40:                               ;   in Loop: Header=BB1_31 Depth=1
	v_mov_b32_e32 v12, 0
	v_mov_b32_e32 v13, 0
	s_mov_b32 s5, exec_lo
	v_cmpx_ne_u32_e32 0, v14
	s_cbranch_execz .LBB1_44
; %bb.41:                               ;   in Loop: Header=BB1_31 Depth=1
	v_mov_b32_e32 v12, 0
	v_mov_b32_e32 v13, 0
	s_mov_b64 s[0:1], 0
	s_mov_b32 s6, 0
	s_mov_b32 s7, 0
	.p2align	6
.LBB1_42:                               ;   Parent Loop BB1_31 Depth=1
                                        ; =>  This Inner Loop Header: Depth=2
	s_delay_alu instid0(SALU_CYCLE_1) | instskip(SKIP_1) | instid1(SALU_CYCLE_1)
	v_dual_mov_b32 v16, s11 :: v_dual_add_nc_u32 v15, s7, v8
	s_add_i32 s7, s7, 1
	v_cmp_eq_u32_e32 vcc_lo, s7, v14
	scratch_load_u8 v15, v15, off
	s_waitcnt vmcnt(0)
	v_and_b32_e32 v15, 0xffff, v15
	s_delay_alu instid0(VALU_DEP_1) | instskip(SKIP_3) | instid1(VALU_DEP_1)
	v_lshlrev_b64 v[15:16], s0, v[15:16]
	s_add_u32 s0, s0, 8
	s_addc_u32 s1, s1, 0
	s_or_b32 s6, vcc_lo, s6
	v_or_b32_e32 v13, v16, v13
	s_delay_alu instid0(VALU_DEP_2)
	v_or_b32_e32 v12, v15, v12
	s_and_not1_b32 exec_lo, exec_lo, s6
	s_cbranch_execnz .LBB1_42
; %bb.43:                               ;   in Loop: Header=BB1_31 Depth=1
	s_or_b32 exec_lo, exec_lo, s6
.LBB1_44:                               ;   in Loop: Header=BB1_31 Depth=1
	s_delay_alu instid0(SALU_CYCLE_1)
	s_or_b32 exec_lo, exec_lo, s5
	s_mov_b32 s1, 0
                                        ; implicit-def: $vgpr14
.LBB1_45:                               ;   in Loop: Header=BB1_31 Depth=1
	s_or_saveexec_b32 s0, s4
	v_mov_b32_e32 v16, s1
	s_xor_b32 exec_lo, exec_lo, s0
	s_cbranch_execz .LBB1_47
; %bb.46:                               ;   in Loop: Header=BB1_31 Depth=1
	scratch_load_b64 v[12:13], v8, off
	v_add_nc_u32_e32 v8, 8, v8
	s_waitcnt vmcnt(0)
	v_and_b32_e32 v15, 0xff, v13
	v_and_b32_e32 v16, 0xff00, v13
	;; [unrolled: 1-line block ×4, first 2 shown]
	v_or3_b32 v12, v12, 0, 0
	s_delay_alu instid0(VALU_DEP_4) | instskip(SKIP_1) | instid1(VALU_DEP_2)
	v_or_b32_e32 v15, v15, v16
	v_add_nc_u32_e32 v16, -8, v14
	v_or3_b32 v13, v15, v17, v13
.LBB1_47:                               ;   in Loop: Header=BB1_31 Depth=1
	s_or_b32 exec_lo, exec_lo, s0
                                        ; implicit-def: $sgpr1
	s_delay_alu instid0(SALU_CYCLE_1) | instskip(NEXT) | instid1(VALU_DEP_1)
	s_mov_b32 s0, exec_lo
	v_cmpx_gt_u32_e32 8, v16
	s_xor_b32 s4, exec_lo, s0
	s_cbranch_execz .LBB1_53
; %bb.48:                               ;   in Loop: Header=BB1_31 Depth=1
	v_mov_b32_e32 v14, 0
	v_mov_b32_e32 v15, 0
	s_mov_b32 s5, exec_lo
	v_cmpx_ne_u32_e32 0, v16
	s_cbranch_execz .LBB1_52
; %bb.49:                               ;   in Loop: Header=BB1_31 Depth=1
	v_mov_b32_e32 v14, 0
	v_mov_b32_e32 v15, 0
	s_mov_b64 s[0:1], 0
	s_mov_b32 s6, 0
	s_mov_b32 s7, 0
	.p2align	6
.LBB1_50:                               ;   Parent Loop BB1_31 Depth=1
                                        ; =>  This Inner Loop Header: Depth=2
	s_delay_alu instid0(SALU_CYCLE_1) | instskip(SKIP_1) | instid1(SALU_CYCLE_1)
	v_dual_mov_b32 v18, s11 :: v_dual_add_nc_u32 v17, s7, v8
	s_add_i32 s7, s7, 1
	v_cmp_eq_u32_e32 vcc_lo, s7, v16
	scratch_load_u8 v17, v17, off
	s_waitcnt vmcnt(0)
	v_and_b32_e32 v17, 0xffff, v17
	s_delay_alu instid0(VALU_DEP_1) | instskip(SKIP_3) | instid1(VALU_DEP_1)
	v_lshlrev_b64 v[17:18], s0, v[17:18]
	s_add_u32 s0, s0, 8
	s_addc_u32 s1, s1, 0
	s_or_b32 s6, vcc_lo, s6
	v_or_b32_e32 v15, v18, v15
	s_delay_alu instid0(VALU_DEP_2)
	v_or_b32_e32 v14, v17, v14
	s_and_not1_b32 exec_lo, exec_lo, s6
	s_cbranch_execnz .LBB1_50
; %bb.51:                               ;   in Loop: Header=BB1_31 Depth=1
	s_or_b32 exec_lo, exec_lo, s6
.LBB1_52:                               ;   in Loop: Header=BB1_31 Depth=1
	s_delay_alu instid0(SALU_CYCLE_1)
	s_or_b32 exec_lo, exec_lo, s5
	s_mov_b32 s1, 0
                                        ; implicit-def: $vgpr16
.LBB1_53:                               ;   in Loop: Header=BB1_31 Depth=1
	s_or_saveexec_b32 s0, s4
	v_mov_b32_e32 v18, s1
	s_xor_b32 exec_lo, exec_lo, s0
	s_cbranch_execz .LBB1_55
; %bb.54:                               ;   in Loop: Header=BB1_31 Depth=1
	scratch_load_b64 v[14:15], v8, off
	v_add_nc_u32_e32 v8, 8, v8
	s_waitcnt vmcnt(0)
	v_and_b32_e32 v17, 0xff, v15
	v_and_b32_e32 v18, 0xff00, v15
	;; [unrolled: 1-line block ×4, first 2 shown]
	v_or3_b32 v14, v14, 0, 0
	s_delay_alu instid0(VALU_DEP_4) | instskip(SKIP_1) | instid1(VALU_DEP_2)
	v_or_b32_e32 v17, v17, v18
	v_add_nc_u32_e32 v18, -8, v16
	v_or3_b32 v15, v17, v19, v15
.LBB1_55:                               ;   in Loop: Header=BB1_31 Depth=1
	s_or_b32 exec_lo, exec_lo, s0
                                        ; implicit-def: $vgpr16_vgpr17
                                        ; implicit-def: $sgpr1
	s_delay_alu instid0(SALU_CYCLE_1) | instskip(NEXT) | instid1(VALU_DEP_1)
	s_mov_b32 s0, exec_lo
	v_cmpx_gt_u32_e32 8, v18
	s_xor_b32 s4, exec_lo, s0
	s_cbranch_execz .LBB1_61
; %bb.56:                               ;   in Loop: Header=BB1_31 Depth=1
	v_mov_b32_e32 v16, 0
	v_mov_b32_e32 v17, 0
	s_mov_b32 s5, exec_lo
	v_cmpx_ne_u32_e32 0, v18
	s_cbranch_execz .LBB1_60
; %bb.57:                               ;   in Loop: Header=BB1_31 Depth=1
	v_mov_b32_e32 v16, 0
	v_mov_b32_e32 v17, 0
	s_mov_b64 s[0:1], 0
	s_mov_b32 s6, 0
	s_mov_b32 s7, 0
	.p2align	6
.LBB1_58:                               ;   Parent Loop BB1_31 Depth=1
                                        ; =>  This Inner Loop Header: Depth=2
	s_delay_alu instid0(SALU_CYCLE_1) | instskip(SKIP_1) | instid1(SALU_CYCLE_1)
	v_dual_mov_b32 v20, s11 :: v_dual_add_nc_u32 v19, s7, v8
	s_add_i32 s7, s7, 1
	v_cmp_eq_u32_e32 vcc_lo, s7, v18
	scratch_load_u8 v19, v19, off
	s_waitcnt vmcnt(0)
	v_and_b32_e32 v19, 0xffff, v19
	s_delay_alu instid0(VALU_DEP_1) | instskip(SKIP_3) | instid1(VALU_DEP_1)
	v_lshlrev_b64 v[19:20], s0, v[19:20]
	s_add_u32 s0, s0, 8
	s_addc_u32 s1, s1, 0
	s_or_b32 s6, vcc_lo, s6
	v_or_b32_e32 v17, v20, v17
	s_delay_alu instid0(VALU_DEP_2)
	v_or_b32_e32 v16, v19, v16
	s_and_not1_b32 exec_lo, exec_lo, s6
	s_cbranch_execnz .LBB1_58
; %bb.59:                               ;   in Loop: Header=BB1_31 Depth=1
	s_or_b32 exec_lo, exec_lo, s6
.LBB1_60:                               ;   in Loop: Header=BB1_31 Depth=1
	s_delay_alu instid0(SALU_CYCLE_1)
	s_or_b32 exec_lo, exec_lo, s5
	s_mov_b32 s1, 0
                                        ; implicit-def: $vgpr18
.LBB1_61:                               ;   in Loop: Header=BB1_31 Depth=1
	s_or_saveexec_b32 s0, s4
	v_mov_b32_e32 v20, s1
	s_xor_b32 exec_lo, exec_lo, s0
	s_cbranch_execz .LBB1_63
; %bb.62:                               ;   in Loop: Header=BB1_31 Depth=1
	scratch_load_b64 v[16:17], v8, off
	v_add_nc_u32_e32 v8, 8, v8
	s_waitcnt vmcnt(0)
	v_and_b32_e32 v19, 0xff, v17
	v_and_b32_e32 v20, 0xff00, v17
	v_and_b32_e32 v21, 0xff0000, v17
	v_and_b32_e32 v17, 0xff000000, v17
	v_or3_b32 v16, v16, 0, 0
	s_delay_alu instid0(VALU_DEP_4) | instskip(SKIP_1) | instid1(VALU_DEP_2)
	v_or_b32_e32 v19, v19, v20
	v_add_nc_u32_e32 v20, -8, v18
	v_or3_b32 v17, v19, v21, v17
.LBB1_63:                               ;   in Loop: Header=BB1_31 Depth=1
	s_or_b32 exec_lo, exec_lo, s0
                                        ; implicit-def: $sgpr1
	s_delay_alu instid0(SALU_CYCLE_1) | instskip(NEXT) | instid1(VALU_DEP_1)
	s_mov_b32 s0, exec_lo
	v_cmpx_gt_u32_e32 8, v20
	s_xor_b32 s4, exec_lo, s0
	s_cbranch_execz .LBB1_69
; %bb.64:                               ;   in Loop: Header=BB1_31 Depth=1
	v_mov_b32_e32 v18, 0
	v_mov_b32_e32 v19, 0
	s_mov_b32 s5, exec_lo
	v_cmpx_ne_u32_e32 0, v20
	s_cbranch_execz .LBB1_68
; %bb.65:                               ;   in Loop: Header=BB1_31 Depth=1
	v_mov_b32_e32 v18, 0
	v_mov_b32_e32 v19, 0
	s_mov_b64 s[0:1], 0
	s_mov_b32 s6, 0
	s_mov_b32 s7, 0
	.p2align	6
.LBB1_66:                               ;   Parent Loop BB1_31 Depth=1
                                        ; =>  This Inner Loop Header: Depth=2
	s_delay_alu instid0(SALU_CYCLE_1) | instskip(SKIP_1) | instid1(SALU_CYCLE_1)
	v_dual_mov_b32 v22, s11 :: v_dual_add_nc_u32 v21, s7, v8
	s_add_i32 s7, s7, 1
	v_cmp_eq_u32_e32 vcc_lo, s7, v20
	scratch_load_u8 v21, v21, off
	s_waitcnt vmcnt(0)
	v_and_b32_e32 v21, 0xffff, v21
	s_delay_alu instid0(VALU_DEP_1) | instskip(SKIP_3) | instid1(VALU_DEP_1)
	v_lshlrev_b64 v[21:22], s0, v[21:22]
	s_add_u32 s0, s0, 8
	s_addc_u32 s1, s1, 0
	s_or_b32 s6, vcc_lo, s6
	v_or_b32_e32 v19, v22, v19
	s_delay_alu instid0(VALU_DEP_2)
	v_or_b32_e32 v18, v21, v18
	s_and_not1_b32 exec_lo, exec_lo, s6
	s_cbranch_execnz .LBB1_66
; %bb.67:                               ;   in Loop: Header=BB1_31 Depth=1
	s_or_b32 exec_lo, exec_lo, s6
.LBB1_68:                               ;   in Loop: Header=BB1_31 Depth=1
	s_delay_alu instid0(SALU_CYCLE_1)
	s_or_b32 exec_lo, exec_lo, s5
	s_mov_b32 s1, 0
                                        ; implicit-def: $vgpr20
.LBB1_69:                               ;   in Loop: Header=BB1_31 Depth=1
	s_or_saveexec_b32 s0, s4
	v_mov_b32_e32 v22, s1
	s_xor_b32 exec_lo, exec_lo, s0
	s_cbranch_execz .LBB1_71
; %bb.70:                               ;   in Loop: Header=BB1_31 Depth=1
	scratch_load_b64 v[18:19], v8, off
	v_add_nc_u32_e32 v8, 8, v8
	s_waitcnt vmcnt(0)
	v_and_b32_e32 v21, 0xff, v19
	v_and_b32_e32 v22, 0xff00, v19
	v_and_b32_e32 v23, 0xff0000, v19
	v_and_b32_e32 v19, 0xff000000, v19
	v_or3_b32 v18, v18, 0, 0
	s_delay_alu instid0(VALU_DEP_4) | instskip(SKIP_1) | instid1(VALU_DEP_2)
	v_or_b32_e32 v21, v21, v22
	v_add_nc_u32_e32 v22, -8, v20
	v_or3_b32 v19, v21, v23, v19
.LBB1_71:                               ;   in Loop: Header=BB1_31 Depth=1
	s_or_b32 exec_lo, exec_lo, s0
                                        ; implicit-def: $vgpr20_vgpr21
                                        ; implicit-def: $sgpr1
	s_delay_alu instid0(SALU_CYCLE_1) | instskip(NEXT) | instid1(VALU_DEP_1)
	s_mov_b32 s0, exec_lo
	v_cmpx_gt_u32_e32 8, v22
	s_xor_b32 s4, exec_lo, s0
	s_cbranch_execz .LBB1_77
; %bb.72:                               ;   in Loop: Header=BB1_31 Depth=1
	v_mov_b32_e32 v20, 0
	v_mov_b32_e32 v21, 0
	s_mov_b32 s5, exec_lo
	v_cmpx_ne_u32_e32 0, v22
	s_cbranch_execz .LBB1_76
; %bb.73:                               ;   in Loop: Header=BB1_31 Depth=1
	v_mov_b32_e32 v20, 0
	v_mov_b32_e32 v21, 0
	s_mov_b64 s[0:1], 0
	s_mov_b32 s6, 0
	s_mov_b32 s7, 0
	.p2align	6
.LBB1_74:                               ;   Parent Loop BB1_31 Depth=1
                                        ; =>  This Inner Loop Header: Depth=2
	s_delay_alu instid0(SALU_CYCLE_1) | instskip(SKIP_1) | instid1(SALU_CYCLE_1)
	v_dual_mov_b32 v24, s11 :: v_dual_add_nc_u32 v23, s7, v8
	s_add_i32 s7, s7, 1
	v_cmp_eq_u32_e32 vcc_lo, s7, v22
	scratch_load_u8 v23, v23, off
	s_waitcnt vmcnt(0)
	v_and_b32_e32 v23, 0xffff, v23
	s_delay_alu instid0(VALU_DEP_1) | instskip(SKIP_3) | instid1(VALU_DEP_1)
	v_lshlrev_b64 v[23:24], s0, v[23:24]
	s_add_u32 s0, s0, 8
	s_addc_u32 s1, s1, 0
	s_or_b32 s6, vcc_lo, s6
	v_or_b32_e32 v21, v24, v21
	s_delay_alu instid0(VALU_DEP_2)
	v_or_b32_e32 v20, v23, v20
	s_and_not1_b32 exec_lo, exec_lo, s6
	s_cbranch_execnz .LBB1_74
; %bb.75:                               ;   in Loop: Header=BB1_31 Depth=1
	s_or_b32 exec_lo, exec_lo, s6
.LBB1_76:                               ;   in Loop: Header=BB1_31 Depth=1
	s_delay_alu instid0(SALU_CYCLE_1)
	s_or_b32 exec_lo, exec_lo, s5
	s_mov_b32 s1, 0
                                        ; implicit-def: $vgpr22
.LBB1_77:                               ;   in Loop: Header=BB1_31 Depth=1
	s_or_saveexec_b32 s0, s4
	v_mov_b32_e32 v24, s1
	s_xor_b32 exec_lo, exec_lo, s0
	s_cbranch_execz .LBB1_79
; %bb.78:                               ;   in Loop: Header=BB1_31 Depth=1
	scratch_load_b64 v[20:21], v8, off
	v_add_nc_u32_e32 v8, 8, v8
	s_waitcnt vmcnt(0)
	v_and_b32_e32 v23, 0xff, v21
	v_and_b32_e32 v24, 0xff00, v21
	;; [unrolled: 1-line block ×4, first 2 shown]
	v_or3_b32 v20, v20, 0, 0
	s_delay_alu instid0(VALU_DEP_4) | instskip(SKIP_1) | instid1(VALU_DEP_2)
	v_or_b32_e32 v23, v23, v24
	v_add_nc_u32_e32 v24, -8, v22
	v_or3_b32 v21, v23, v25, v21
.LBB1_79:                               ;   in Loop: Header=BB1_31 Depth=1
	s_or_b32 exec_lo, exec_lo, s0
	s_delay_alu instid0(SALU_CYCLE_1) | instskip(NEXT) | instid1(VALU_DEP_1)
	s_mov_b32 s0, exec_lo
	v_cmpx_gt_u32_e32 8, v24
	s_xor_b32 s4, exec_lo, s0
	s_cbranch_execz .LBB1_85
; %bb.80:                               ;   in Loop: Header=BB1_31 Depth=1
	v_mov_b32_e32 v22, 0
	v_mov_b32_e32 v23, 0
	s_mov_b32 s5, exec_lo
	v_cmpx_ne_u32_e32 0, v24
	s_cbranch_execz .LBB1_84
; %bb.81:                               ;   in Loop: Header=BB1_31 Depth=1
	v_mov_b32_e32 v22, 0
	v_mov_b32_e32 v23, 0
	s_mov_b64 s[0:1], 0
	s_mov_b32 s6, 0
	.p2align	6
.LBB1_82:                               ;   Parent Loop BB1_31 Depth=1
                                        ; =>  This Inner Loop Header: Depth=2
	scratch_load_u8 v25, v8, off
	v_mov_b32_e32 v26, s11
	v_add_nc_u32_e32 v24, -1, v24
	v_add_nc_u32_e32 v8, 1, v8
	s_delay_alu instid0(VALU_DEP_2) | instskip(SKIP_2) | instid1(VALU_DEP_1)
	v_cmp_eq_u32_e32 vcc_lo, 0, v24
	s_waitcnt vmcnt(0)
	v_and_b32_e32 v25, 0xffff, v25
	v_lshlrev_b64 v[25:26], s0, v[25:26]
	s_add_u32 s0, s0, 8
	s_addc_u32 s1, s1, 0
	s_or_b32 s6, vcc_lo, s6
	s_delay_alu instid0(VALU_DEP_1) | instskip(NEXT) | instid1(VALU_DEP_2)
	v_or_b32_e32 v23, v26, v23
	v_or_b32_e32 v22, v25, v22
	s_and_not1_b32 exec_lo, exec_lo, s6
	s_cbranch_execnz .LBB1_82
; %bb.83:                               ;   in Loop: Header=BB1_31 Depth=1
	s_or_b32 exec_lo, exec_lo, s6
.LBB1_84:                               ;   in Loop: Header=BB1_31 Depth=1
	s_delay_alu instid0(SALU_CYCLE_1)
	s_or_b32 exec_lo, exec_lo, s5
                                        ; implicit-def: $vgpr8
.LBB1_85:                               ;   in Loop: Header=BB1_31 Depth=1
	s_and_not1_saveexec_b32 s0, s4
	s_cbranch_execz .LBB1_87
; %bb.86:                               ;   in Loop: Header=BB1_31 Depth=1
	scratch_load_b64 v[22:23], v8, off
	s_waitcnt vmcnt(0)
	v_and_b32_e32 v8, 0xff, v23
	v_and_b32_e32 v24, 0xff00, v23
	v_and_b32_e32 v25, 0xff0000, v23
	v_and_b32_e32 v23, 0xff000000, v23
	v_or3_b32 v22, v22, 0, 0
	s_delay_alu instid0(VALU_DEP_4) | instskip(NEXT) | instid1(VALU_DEP_1)
	v_or_b32_e32 v8, v8, v24
	v_or3_b32 v23, v8, v25, v23
.LBB1_87:                               ;   in Loop: Header=BB1_31 Depth=1
	s_or_b32 exec_lo, exec_lo, s0
	v_readfirstlane_b32 s0, v35
	v_mov_b32_e32 v32, 0
	v_mov_b32_e32 v33, 0
	s_delay_alu instid0(VALU_DEP_3) | instskip(NEXT) | instid1(VALU_DEP_1)
	v_cmp_eq_u32_e64 s0, s0, v35
	s_and_saveexec_b32 s1, s0
	s_cbranch_execz .LBB1_93
; %bb.88:                               ;   in Loop: Header=BB1_31 Depth=1
	global_load_b64 v[26:27], v9, s[2:3] offset:24 glc
	s_waitcnt vmcnt(0)
	buffer_gl1_inv
	buffer_gl0_inv
	s_clause 0x1
	global_load_b64 v[24:25], v9, s[2:3] offset:40
	global_load_b64 v[32:33], v9, s[2:3]
	s_mov_b32 s4, exec_lo
	s_waitcnt vmcnt(1)
	v_and_b32_e32 v8, v25, v27
	v_and_b32_e32 v24, v24, v26
	s_delay_alu instid0(VALU_DEP_2) | instskip(NEXT) | instid1(VALU_DEP_2)
	v_mul_lo_u32 v8, v8, 24
	v_mul_hi_u32 v25, v24, 24
	v_mul_lo_u32 v24, v24, 24
	s_delay_alu instid0(VALU_DEP_2) | instskip(SKIP_1) | instid1(VALU_DEP_2)
	v_add_nc_u32_e32 v8, v25, v8
	s_waitcnt vmcnt(0)
	v_add_co_u32 v24, vcc_lo, v32, v24
	s_delay_alu instid0(VALU_DEP_2)
	v_add_co_ci_u32_e32 v25, vcc_lo, v33, v8, vcc_lo
	global_load_b64 v[24:25], v[24:25], off glc
	s_waitcnt vmcnt(0)
	global_atomic_cmpswap_b64 v[32:33], v9, v[24:27], s[2:3] offset:24 glc
	s_waitcnt vmcnt(0)
	buffer_gl1_inv
	buffer_gl0_inv
	v_cmpx_ne_u64_e64 v[32:33], v[26:27]
	s_cbranch_execz .LBB1_92
; %bb.89:                               ;   in Loop: Header=BB1_31 Depth=1
	s_mov_b32 s5, 0
	.p2align	6
.LBB1_90:                               ;   Parent Loop BB1_31 Depth=1
                                        ; =>  This Inner Loop Header: Depth=2
	s_sleep 1
	s_clause 0x1
	global_load_b64 v[24:25], v9, s[2:3] offset:40
	global_load_b64 v[38:39], v9, s[2:3]
	v_dual_mov_b32 v26, v32 :: v_dual_mov_b32 v27, v33
	s_waitcnt vmcnt(1)
	s_delay_alu instid0(VALU_DEP_1) | instskip(SKIP_1) | instid1(VALU_DEP_1)
	v_and_b32_e32 v8, v24, v26
	s_waitcnt vmcnt(0)
	v_mad_u64_u32 v[32:33], null, v8, 24, v[38:39]
	v_and_b32_e32 v38, v25, v27
	s_delay_alu instid0(VALU_DEP_2) | instskip(NEXT) | instid1(VALU_DEP_1)
	v_mov_b32_e32 v8, v33
	v_mad_u64_u32 v[24:25], null, v38, 24, v[8:9]
	s_delay_alu instid0(VALU_DEP_1)
	v_mov_b32_e32 v33, v24
	global_load_b64 v[24:25], v[32:33], off glc
	s_waitcnt vmcnt(0)
	global_atomic_cmpswap_b64 v[32:33], v9, v[24:27], s[2:3] offset:24 glc
	s_waitcnt vmcnt(0)
	buffer_gl1_inv
	buffer_gl0_inv
	v_cmp_eq_u64_e32 vcc_lo, v[32:33], v[26:27]
	s_or_b32 s5, vcc_lo, s5
	s_delay_alu instid0(SALU_CYCLE_1)
	s_and_not1_b32 exec_lo, exec_lo, s5
	s_cbranch_execnz .LBB1_90
; %bb.91:                               ;   in Loop: Header=BB1_31 Depth=1
	s_or_b32 exec_lo, exec_lo, s5
.LBB1_92:                               ;   in Loop: Header=BB1_31 Depth=1
	s_delay_alu instid0(SALU_CYCLE_1)
	s_or_b32 exec_lo, exec_lo, s4
.LBB1_93:                               ;   in Loop: Header=BB1_31 Depth=1
	s_delay_alu instid0(SALU_CYCLE_1)
	s_or_b32 exec_lo, exec_lo, s1
	s_clause 0x1
	global_load_b64 v[38:39], v9, s[2:3] offset:40
	global_load_b128 v[24:27], v9, s[2:3]
	v_readfirstlane_b32 s4, v32
	v_readfirstlane_b32 s5, v33
	s_mov_b32 s1, exec_lo
	s_waitcnt vmcnt(1)
	v_readfirstlane_b32 s6, v38
	v_readfirstlane_b32 s7, v39
	s_delay_alu instid0(VALU_DEP_1) | instskip(NEXT) | instid1(SALU_CYCLE_1)
	s_and_b64 s[6:7], s[4:5], s[6:7]
	s_mul_i32 s12, s7, 24
	s_mul_hi_u32 s13, s6, 24
	s_mul_i32 s14, s6, 24
	s_add_i32 s13, s13, s12
	s_waitcnt vmcnt(0)
	v_add_co_u32 v32, vcc_lo, v24, s14
	v_add_co_ci_u32_e32 v33, vcc_lo, s13, v25, vcc_lo
	s_and_saveexec_b32 s12, s0
	s_cbranch_execz .LBB1_95
; %bb.94:                               ;   in Loop: Header=BB1_31 Depth=1
	v_mov_b32_e32 v8, s1
	global_store_b128 v[32:33], v[8:11], off offset:8
.LBB1_95:                               ;   in Loop: Header=BB1_31 Depth=1
	s_or_b32 exec_lo, exec_lo, s12
	v_cmp_lt_u64_e32 vcc_lo, 56, v[28:29]
	v_or_b32_e32 v8, 0, v1
	v_or_b32_e32 v38, v0, v36
	v_lshl_add_u32 v39, v30, 2, 28
	s_lshl_b64 s[6:7], s[6:7], 12
	s_delay_alu instid0(SALU_CYCLE_1) | instskip(NEXT) | instid1(VALU_DEP_1)
	v_add_co_u32 v26, s1, v26, s6
	v_add_co_ci_u32_e64 v27, s1, s7, v27, s1
	v_dual_cndmask_b32 v1, v8, v1 :: v_dual_cndmask_b32 v0, v38, v0
	v_and_b32_e32 v8, 0x1e0, v39
	s_delay_alu instid0(VALU_DEP_4) | instskip(NEXT) | instid1(VALU_DEP_4)
	v_readfirstlane_b32 s6, v26
	v_readfirstlane_b32 s7, v27
	s_delay_alu instid0(VALU_DEP_3)
	v_and_or_b32 v0, 0xffffff1f, v0, v8
	s_clause 0x3
	global_store_b128 v34, v[0:3], s[6:7]
	global_store_b128 v34, v[12:15], s[6:7] offset:16
	global_store_b128 v34, v[16:19], s[6:7] offset:32
	;; [unrolled: 1-line block ×3, first 2 shown]
	s_and_saveexec_b32 s1, s0
	s_cbranch_execz .LBB1_103
; %bb.96:                               ;   in Loop: Header=BB1_31 Depth=1
	s_clause 0x1
	global_load_b64 v[16:17], v9, s[2:3] offset:32 glc
	global_load_b64 v[0:1], v9, s[2:3] offset:40
	v_dual_mov_b32 v14, s4 :: v_dual_mov_b32 v15, s5
	s_waitcnt vmcnt(0)
	v_readfirstlane_b32 s6, v0
	v_readfirstlane_b32 s7, v1
	s_delay_alu instid0(VALU_DEP_1) | instskip(NEXT) | instid1(SALU_CYCLE_1)
	s_and_b64 s[6:7], s[6:7], s[4:5]
	s_mul_i32 s7, s7, 24
	s_mul_hi_u32 s12, s6, 24
	s_mul_i32 s6, s6, 24
	s_add_i32 s12, s12, s7
	v_add_co_u32 v12, vcc_lo, v24, s6
	v_add_co_ci_u32_e32 v13, vcc_lo, s12, v25, vcc_lo
	s_mov_b32 s6, exec_lo
	global_store_b64 v[12:13], v[16:17], off
	s_waitcnt_vscnt null, 0x0
	global_atomic_cmpswap_b64 v[2:3], v9, v[14:17], s[2:3] offset:32 glc
	s_waitcnt vmcnt(0)
	v_cmpx_ne_u64_e64 v[2:3], v[16:17]
	s_cbranch_execz .LBB1_99
; %bb.97:                               ;   in Loop: Header=BB1_31 Depth=1
	s_mov_b32 s7, 0
.LBB1_98:                               ;   Parent Loop BB1_31 Depth=1
                                        ; =>  This Inner Loop Header: Depth=2
	v_dual_mov_b32 v0, s4 :: v_dual_mov_b32 v1, s5
	s_sleep 1
	global_store_b64 v[12:13], v[2:3], off
	s_waitcnt_vscnt null, 0x0
	global_atomic_cmpswap_b64 v[0:1], v9, v[0:3], s[2:3] offset:32 glc
	s_waitcnt vmcnt(0)
	v_cmp_eq_u64_e32 vcc_lo, v[0:1], v[2:3]
	v_dual_mov_b32 v3, v1 :: v_dual_mov_b32 v2, v0
	s_or_b32 s7, vcc_lo, s7
	s_delay_alu instid0(SALU_CYCLE_1)
	s_and_not1_b32 exec_lo, exec_lo, s7
	s_cbranch_execnz .LBB1_98
.LBB1_99:                               ;   in Loop: Header=BB1_31 Depth=1
	s_or_b32 exec_lo, exec_lo, s6
	global_load_b64 v[0:1], v9, s[2:3] offset:16
	s_mov_b32 s7, exec_lo
	s_mov_b32 s6, exec_lo
	v_mbcnt_lo_u32_b32 v2, s7, 0
	s_delay_alu instid0(VALU_DEP_1)
	v_cmpx_eq_u32_e32 0, v2
	s_cbranch_execz .LBB1_101
; %bb.100:                              ;   in Loop: Header=BB1_31 Depth=1
	s_bcnt1_i32_b32 s7, s7
	s_delay_alu instid0(SALU_CYCLE_1)
	v_mov_b32_e32 v8, s7
	s_waitcnt vmcnt(0)
	global_atomic_add_u64 v[0:1], v[8:9], off offset:8
.LBB1_101:                              ;   in Loop: Header=BB1_31 Depth=1
	s_or_b32 exec_lo, exec_lo, s6
	s_waitcnt vmcnt(0)
	global_load_b64 v[2:3], v[0:1], off offset:16
	s_waitcnt vmcnt(0)
	v_cmp_eq_u64_e32 vcc_lo, 0, v[2:3]
	s_cbranch_vccnz .LBB1_103
; %bb.102:                              ;   in Loop: Header=BB1_31 Depth=1
	global_load_b32 v8, v[0:1], off offset:24
	s_waitcnt vmcnt(0)
	v_and_b32_e32 v0, 0xffffff, v8
	s_waitcnt_vscnt null, 0x0
	global_store_b64 v[2:3], v[8:9], off
	v_readfirstlane_b32 m0, v0
	s_sendmsg sendmsg(MSG_INTERRUPT)
.LBB1_103:                              ;   in Loop: Header=BB1_31 Depth=1
	s_or_b32 exec_lo, exec_lo, s1
	v_add_co_u32 v0, vcc_lo, v26, v34
	v_add_co_ci_u32_e32 v1, vcc_lo, 0, v27, vcc_lo
	s_branch .LBB1_107
	.p2align	6
.LBB1_104:                              ;   in Loop: Header=BB1_107 Depth=2
	s_or_b32 exec_lo, exec_lo, s1
	s_delay_alu instid0(VALU_DEP_1) | instskip(NEXT) | instid1(VALU_DEP_1)
	v_readfirstlane_b32 s1, v2
	s_cmp_eq_u32 s1, 0
	s_cbranch_scc1 .LBB1_106
; %bb.105:                              ;   in Loop: Header=BB1_107 Depth=2
	s_sleep 1
	s_cbranch_execnz .LBB1_107
	s_branch .LBB1_109
	.p2align	6
.LBB1_106:                              ;   in Loop: Header=BB1_31 Depth=1
	s_branch .LBB1_109
.LBB1_107:                              ;   Parent Loop BB1_31 Depth=1
                                        ; =>  This Inner Loop Header: Depth=2
	v_mov_b32_e32 v2, 1
	s_and_saveexec_b32 s1, s0
	s_cbranch_execz .LBB1_104
; %bb.108:                              ;   in Loop: Header=BB1_107 Depth=2
	global_load_b32 v2, v[32:33], off offset:20 glc
	s_waitcnt vmcnt(0)
	buffer_gl1_inv
	buffer_gl0_inv
	v_and_b32_e32 v2, 1, v2
	s_branch .LBB1_104
.LBB1_109:                              ;   in Loop: Header=BB1_31 Depth=1
	global_load_b128 v[0:3], v[0:1], off
	s_and_saveexec_b32 s1, s0
	s_cbranch_execz .LBB1_30
; %bb.110:                              ;   in Loop: Header=BB1_31 Depth=1
	s_clause 0x2
	global_load_b64 v[2:3], v9, s[2:3] offset:40
	global_load_b64 v[16:17], v9, s[2:3] offset:24 glc
	global_load_b64 v[14:15], v9, s[2:3]
	s_waitcnt vmcnt(2)
	v_add_co_u32 v8, vcc_lo, v2, 1
	v_add_co_ci_u32_e32 v18, vcc_lo, 0, v3, vcc_lo
	s_delay_alu instid0(VALU_DEP_2) | instskip(NEXT) | instid1(VALU_DEP_2)
	v_add_co_u32 v12, vcc_lo, v8, s4
	v_add_co_ci_u32_e32 v13, vcc_lo, s5, v18, vcc_lo
	s_delay_alu instid0(VALU_DEP_1) | instskip(SKIP_1) | instid1(VALU_DEP_1)
	v_cmp_eq_u64_e32 vcc_lo, 0, v[12:13]
	v_dual_cndmask_b32 v13, v13, v18 :: v_dual_cndmask_b32 v12, v12, v8
	v_and_b32_e32 v3, v13, v3
	s_delay_alu instid0(VALU_DEP_2) | instskip(NEXT) | instid1(VALU_DEP_1)
	v_and_b32_e32 v2, v12, v2
	v_mul_hi_u32 v8, v2, 24
	v_mul_lo_u32 v2, v2, 24
	s_waitcnt vmcnt(0)
	s_delay_alu instid0(VALU_DEP_1) | instskip(SKIP_2) | instid1(VALU_DEP_1)
	v_add_co_u32 v2, vcc_lo, v14, v2
	v_mov_b32_e32 v14, v16
	v_mul_lo_u32 v3, v3, 24
	v_add_nc_u32_e32 v3, v8, v3
	s_delay_alu instid0(VALU_DEP_1)
	v_add_co_ci_u32_e32 v3, vcc_lo, v15, v3, vcc_lo
	v_mov_b32_e32 v15, v17
	global_store_b64 v[2:3], v[16:17], off
	s_waitcnt_vscnt null, 0x0
	global_atomic_cmpswap_b64 v[14:15], v9, v[12:15], s[2:3] offset:24 glc
	s_waitcnt vmcnt(0)
	v_cmp_ne_u64_e32 vcc_lo, v[14:15], v[16:17]
	s_and_b32 exec_lo, exec_lo, vcc_lo
	s_cbranch_execz .LBB1_30
; %bb.111:                              ;   in Loop: Header=BB1_31 Depth=1
	s_mov_b32 s0, 0
.LBB1_112:                              ;   Parent Loop BB1_31 Depth=1
                                        ; =>  This Inner Loop Header: Depth=2
	s_sleep 1
	global_store_b64 v[2:3], v[14:15], off
	s_waitcnt_vscnt null, 0x0
	global_atomic_cmpswap_b64 v[16:17], v9, v[12:15], s[2:3] offset:24 glc
	s_waitcnt vmcnt(0)
	v_cmp_eq_u64_e32 vcc_lo, v[16:17], v[14:15]
	v_dual_mov_b32 v14, v16 :: v_dual_mov_b32 v15, v17
	s_or_b32 s0, vcc_lo, s0
	s_delay_alu instid0(SALU_CYCLE_1)
	s_and_not1_b32 exec_lo, exec_lo, s0
	s_cbranch_execnz .LBB1_112
	s_branch .LBB1_30
.LBB1_113:
                                        ; implicit-def: $vgpr0_vgpr1
	s_cbranch_execnz .LBB1_115
	s_branch .LBB1_142
.LBB1_114:
	s_or_b32 exec_lo, exec_lo, s10
	s_branch .LBB1_142
.LBB1_115:
	v_readfirstlane_b32 s0, v35
	v_mov_b32_e32 v9, 0
	v_mov_b32_e32 v10, 0
	s_delay_alu instid0(VALU_DEP_3) | instskip(NEXT) | instid1(VALU_DEP_1)
	v_cmp_eq_u32_e64 s0, s0, v35
	s_and_saveexec_b32 s1, s0
	s_cbranch_execz .LBB1_121
; %bb.116:
	s_waitcnt vmcnt(0)
	v_mov_b32_e32 v0, 0
	s_mov_b32 s4, exec_lo
	global_load_b64 v[11:12], v0, s[2:3] offset:24 glc
	s_waitcnt vmcnt(0)
	buffer_gl1_inv
	buffer_gl0_inv
	s_clause 0x1
	global_load_b64 v[1:2], v0, s[2:3] offset:40
	global_load_b64 v[8:9], v0, s[2:3]
	s_waitcnt vmcnt(1)
	v_and_b32_e32 v1, v1, v11
	v_and_b32_e32 v2, v2, v12
	s_delay_alu instid0(VALU_DEP_2) | instskip(NEXT) | instid1(VALU_DEP_2)
	v_mul_hi_u32 v3, v1, 24
	v_mul_lo_u32 v2, v2, 24
	v_mul_lo_u32 v1, v1, 24
	s_delay_alu instid0(VALU_DEP_2) | instskip(SKIP_1) | instid1(VALU_DEP_2)
	v_add_nc_u32_e32 v2, v3, v2
	s_waitcnt vmcnt(0)
	v_add_co_u32 v1, vcc_lo, v8, v1
	s_delay_alu instid0(VALU_DEP_2)
	v_add_co_ci_u32_e32 v2, vcc_lo, v9, v2, vcc_lo
	global_load_b64 v[9:10], v[1:2], off glc
	s_waitcnt vmcnt(0)
	global_atomic_cmpswap_b64 v[9:10], v0, v[9:12], s[2:3] offset:24 glc
	s_waitcnt vmcnt(0)
	buffer_gl1_inv
	buffer_gl0_inv
	v_cmpx_ne_u64_e64 v[9:10], v[11:12]
	s_cbranch_execz .LBB1_120
; %bb.117:
	s_mov_b32 s5, 0
	.p2align	6
.LBB1_118:                              ; =>This Inner Loop Header: Depth=1
	s_sleep 1
	s_clause 0x1
	global_load_b64 v[1:2], v0, s[2:3] offset:40
	global_load_b64 v[13:14], v0, s[2:3]
	v_dual_mov_b32 v12, v10 :: v_dual_mov_b32 v11, v9
	s_waitcnt vmcnt(1)
	s_delay_alu instid0(VALU_DEP_1) | instskip(SKIP_1) | instid1(VALU_DEP_1)
	v_and_b32_e32 v1, v1, v11
	s_waitcnt vmcnt(0)
	v_mad_u64_u32 v[8:9], null, v1, 24, v[13:14]
	s_delay_alu instid0(VALU_DEP_1) | instskip(NEXT) | instid1(VALU_DEP_1)
	v_dual_mov_b32 v1, v9 :: v_dual_and_b32 v10, v2, v12
	v_mad_u64_u32 v[2:3], null, v10, 24, v[1:2]
	s_delay_alu instid0(VALU_DEP_1)
	v_mov_b32_e32 v9, v2
	global_load_b64 v[9:10], v[8:9], off glc
	s_waitcnt vmcnt(0)
	global_atomic_cmpswap_b64 v[9:10], v0, v[9:12], s[2:3] offset:24 glc
	s_waitcnt vmcnt(0)
	buffer_gl1_inv
	buffer_gl0_inv
	v_cmp_eq_u64_e32 vcc_lo, v[9:10], v[11:12]
	s_or_b32 s5, vcc_lo, s5
	s_delay_alu instid0(SALU_CYCLE_1)
	s_and_not1_b32 exec_lo, exec_lo, s5
	s_cbranch_execnz .LBB1_118
; %bb.119:
	s_or_b32 exec_lo, exec_lo, s5
.LBB1_120:
	s_delay_alu instid0(SALU_CYCLE_1)
	s_or_b32 exec_lo, exec_lo, s4
.LBB1_121:
	s_delay_alu instid0(SALU_CYCLE_1)
	s_or_b32 exec_lo, exec_lo, s1
	v_mov_b32_e32 v8, 0
	v_readfirstlane_b32 s4, v9
	v_readfirstlane_b32 s5, v10
	s_mov_b32 s1, exec_lo
	s_clause 0x1
	global_load_b64 v[11:12], v8, s[2:3] offset:40
	global_load_b128 v[0:3], v8, s[2:3]
	s_waitcnt vmcnt(1)
	v_readfirstlane_b32 s6, v11
	v_readfirstlane_b32 s7, v12
	s_delay_alu instid0(VALU_DEP_1) | instskip(NEXT) | instid1(SALU_CYCLE_1)
	s_and_b64 s[6:7], s[4:5], s[6:7]
	s_mul_i32 s10, s7, 24
	s_mul_hi_u32 s11, s6, 24
	s_mul_i32 s12, s6, 24
	s_add_i32 s11, s11, s10
	s_waitcnt vmcnt(0)
	v_add_co_u32 v10, vcc_lo, v0, s12
	v_add_co_ci_u32_e32 v11, vcc_lo, s11, v1, vcc_lo
	s_and_saveexec_b32 s10, s0
	s_cbranch_execz .LBB1_123
; %bb.122:
	v_dual_mov_b32 v12, s1 :: v_dual_mov_b32 v13, v8
	v_dual_mov_b32 v14, 2 :: v_dual_mov_b32 v15, 1
	global_store_b128 v[10:11], v[12:15], off offset:8
.LBB1_123:
	s_or_b32 exec_lo, exec_lo, s10
	s_lshl_b64 s[6:7], s[6:7], 12
	s_mov_b32 s12, 0
	v_add_co_u32 v2, vcc_lo, v2, s6
	v_add_co_ci_u32_e32 v3, vcc_lo, s7, v3, vcc_lo
	s_mov_b32 s15, s12
	s_delay_alu instid0(VALU_DEP_2)
	v_add_co_u32 v12, vcc_lo, v2, v34
	s_mov_b32 s13, s12
	s_mov_b32 s14, s12
	v_and_or_b32 v6, 0xffffff1f, v6, 32
	v_mov_b32_e32 v9, v8
	v_readfirstlane_b32 s6, v2
	v_readfirstlane_b32 s7, v3
	v_dual_mov_b32 v17, s15 :: v_dual_mov_b32 v14, s12
	v_add_co_ci_u32_e32 v13, vcc_lo, 0, v3, vcc_lo
	v_dual_mov_b32 v16, s14 :: v_dual_mov_b32 v15, s13
	s_clause 0x3
	global_store_b128 v34, v[6:9], s[6:7]
	global_store_b128 v34, v[14:17], s[6:7] offset:16
	global_store_b128 v34, v[14:17], s[6:7] offset:32
	;; [unrolled: 1-line block ×3, first 2 shown]
	s_and_saveexec_b32 s1, s0
	s_cbranch_execz .LBB1_131
; %bb.124:
	v_dual_mov_b32 v8, 0 :: v_dual_mov_b32 v15, s5
	v_mov_b32_e32 v14, s4
	s_clause 0x1
	global_load_b64 v[16:17], v8, s[2:3] offset:32 glc
	global_load_b64 v[2:3], v8, s[2:3] offset:40
	s_waitcnt vmcnt(0)
	v_readfirstlane_b32 s6, v2
	v_readfirstlane_b32 s7, v3
	s_delay_alu instid0(VALU_DEP_1) | instskip(NEXT) | instid1(SALU_CYCLE_1)
	s_and_b64 s[6:7], s[6:7], s[4:5]
	s_mul_i32 s7, s7, 24
	s_mul_hi_u32 s10, s6, 24
	s_mul_i32 s6, s6, 24
	s_add_i32 s10, s10, s7
	v_add_co_u32 v6, vcc_lo, v0, s6
	v_add_co_ci_u32_e32 v7, vcc_lo, s10, v1, vcc_lo
	s_mov_b32 s6, exec_lo
	global_store_b64 v[6:7], v[16:17], off
	s_waitcnt_vscnt null, 0x0
	global_atomic_cmpswap_b64 v[2:3], v8, v[14:17], s[2:3] offset:32 glc
	s_waitcnt vmcnt(0)
	v_cmpx_ne_u64_e64 v[2:3], v[16:17]
	s_cbranch_execz .LBB1_127
; %bb.125:
	s_mov_b32 s7, 0
.LBB1_126:                              ; =>This Inner Loop Header: Depth=1
	v_dual_mov_b32 v0, s4 :: v_dual_mov_b32 v1, s5
	s_sleep 1
	global_store_b64 v[6:7], v[2:3], off
	s_waitcnt_vscnt null, 0x0
	global_atomic_cmpswap_b64 v[0:1], v8, v[0:3], s[2:3] offset:32 glc
	s_waitcnt vmcnt(0)
	v_cmp_eq_u64_e32 vcc_lo, v[0:1], v[2:3]
	v_dual_mov_b32 v3, v1 :: v_dual_mov_b32 v2, v0
	s_or_b32 s7, vcc_lo, s7
	s_delay_alu instid0(SALU_CYCLE_1)
	s_and_not1_b32 exec_lo, exec_lo, s7
	s_cbranch_execnz .LBB1_126
.LBB1_127:
	s_or_b32 exec_lo, exec_lo, s6
	v_mov_b32_e32 v3, 0
	s_mov_b32 s7, exec_lo
	s_mov_b32 s6, exec_lo
	v_mbcnt_lo_u32_b32 v2, s7, 0
	global_load_b64 v[0:1], v3, s[2:3] offset:16
	v_cmpx_eq_u32_e32 0, v2
	s_cbranch_execz .LBB1_129
; %bb.128:
	s_bcnt1_i32_b32 s7, s7
	s_delay_alu instid0(SALU_CYCLE_1)
	v_mov_b32_e32 v2, s7
	s_waitcnt vmcnt(0)
	global_atomic_add_u64 v[0:1], v[2:3], off offset:8
.LBB1_129:
	s_or_b32 exec_lo, exec_lo, s6
	s_waitcnt vmcnt(0)
	global_load_b64 v[2:3], v[0:1], off offset:16
	s_waitcnt vmcnt(0)
	v_cmp_eq_u64_e32 vcc_lo, 0, v[2:3]
	s_cbranch_vccnz .LBB1_131
; %bb.130:
	global_load_b32 v0, v[0:1], off offset:24
	s_waitcnt vmcnt(0)
	v_dual_mov_b32 v1, 0 :: v_dual_and_b32 v6, 0xffffff, v0
	s_waitcnt_vscnt null, 0x0
	global_store_b64 v[2:3], v[0:1], off
	v_readfirstlane_b32 m0, v6
	s_sendmsg sendmsg(MSG_INTERRUPT)
.LBB1_131:
	s_or_b32 exec_lo, exec_lo, s1
	s_branch .LBB1_135
	.p2align	6
.LBB1_132:                              ;   in Loop: Header=BB1_135 Depth=1
	s_or_b32 exec_lo, exec_lo, s1
	s_delay_alu instid0(VALU_DEP_1) | instskip(NEXT) | instid1(VALU_DEP_1)
	v_readfirstlane_b32 s1, v0
	s_cmp_eq_u32 s1, 0
	s_cbranch_scc1 .LBB1_134
; %bb.133:                              ;   in Loop: Header=BB1_135 Depth=1
	s_sleep 1
	s_cbranch_execnz .LBB1_135
	s_branch .LBB1_137
	.p2align	6
.LBB1_134:
	s_branch .LBB1_137
.LBB1_135:                              ; =>This Inner Loop Header: Depth=1
	v_mov_b32_e32 v0, 1
	s_and_saveexec_b32 s1, s0
	s_cbranch_execz .LBB1_132
; %bb.136:                              ;   in Loop: Header=BB1_135 Depth=1
	global_load_b32 v0, v[10:11], off offset:20 glc
	s_waitcnt vmcnt(0)
	buffer_gl1_inv
	buffer_gl0_inv
	v_and_b32_e32 v0, 1, v0
	s_branch .LBB1_132
.LBB1_137:
	global_load_b64 v[0:1], v[12:13], off
	s_and_saveexec_b32 s1, s0
	s_cbranch_execz .LBB1_141
; %bb.138:
	v_mov_b32_e32 v10, 0
	s_clause 0x2
	global_load_b64 v[2:3], v10, s[2:3] offset:40
	global_load_b64 v[11:12], v10, s[2:3] offset:24 glc
	global_load_b64 v[8:9], v10, s[2:3]
	s_waitcnt vmcnt(2)
	v_add_co_u32 v13, vcc_lo, v2, 1
	v_add_co_ci_u32_e32 v14, vcc_lo, 0, v3, vcc_lo
	s_delay_alu instid0(VALU_DEP_2) | instskip(NEXT) | instid1(VALU_DEP_2)
	v_add_co_u32 v6, vcc_lo, v13, s4
	v_add_co_ci_u32_e32 v7, vcc_lo, s5, v14, vcc_lo
	s_delay_alu instid0(VALU_DEP_1) | instskip(SKIP_1) | instid1(VALU_DEP_1)
	v_cmp_eq_u64_e32 vcc_lo, 0, v[6:7]
	v_dual_cndmask_b32 v7, v7, v14 :: v_dual_cndmask_b32 v6, v6, v13
	v_and_b32_e32 v3, v7, v3
	s_delay_alu instid0(VALU_DEP_2) | instskip(NEXT) | instid1(VALU_DEP_2)
	v_and_b32_e32 v2, v6, v2
	v_mul_lo_u32 v3, v3, 24
	s_delay_alu instid0(VALU_DEP_2) | instskip(SKIP_1) | instid1(VALU_DEP_2)
	v_mul_hi_u32 v13, v2, 24
	v_mul_lo_u32 v2, v2, 24
	v_add_nc_u32_e32 v3, v13, v3
	s_waitcnt vmcnt(0)
	s_delay_alu instid0(VALU_DEP_2) | instskip(SKIP_1) | instid1(VALU_DEP_3)
	v_add_co_u32 v2, vcc_lo, v8, v2
	v_mov_b32_e32 v8, v11
	v_add_co_ci_u32_e32 v3, vcc_lo, v9, v3, vcc_lo
	v_mov_b32_e32 v9, v12
	global_store_b64 v[2:3], v[11:12], off
	s_waitcnt_vscnt null, 0x0
	global_atomic_cmpswap_b64 v[8:9], v10, v[6:9], s[2:3] offset:24 glc
	s_waitcnt vmcnt(0)
	v_cmp_ne_u64_e32 vcc_lo, v[8:9], v[11:12]
	s_and_b32 exec_lo, exec_lo, vcc_lo
	s_cbranch_execz .LBB1_141
; %bb.139:
	s_mov_b32 s0, 0
.LBB1_140:                              ; =>This Inner Loop Header: Depth=1
	s_sleep 1
	global_store_b64 v[2:3], v[8:9], off
	s_waitcnt_vscnt null, 0x0
	global_atomic_cmpswap_b64 v[11:12], v10, v[6:9], s[2:3] offset:24 glc
	s_waitcnt vmcnt(0)
	v_cmp_eq_u64_e32 vcc_lo, v[11:12], v[8:9]
	v_dual_mov_b32 v8, v11 :: v_dual_mov_b32 v9, v12
	s_or_b32 s0, vcc_lo, s0
	s_delay_alu instid0(SALU_CYCLE_1)
	s_and_not1_b32 exec_lo, exec_lo, s0
	s_cbranch_execnz .LBB1_140
.LBB1_141:
	s_or_b32 exec_lo, exec_lo, s1
.LBB1_142:
	s_waitcnt vmcnt(0)
	v_mov_b32_e32 v2, 0
	s_getpc_b64 s[4:5]
	s_add_u32 s4, s4, .str.1@rel32@lo+4
	s_addc_u32 s5, s5, .str.1@rel32@hi+12
.LBB1_143:                              ; =>This Inner Loop Header: Depth=1
	global_load_u8 v3, v2, s[4:5]
	s_add_u32 s0, s4, 1
	s_addc_u32 s1, s5, 0
	s_delay_alu instid0(SALU_CYCLE_1)
	s_mov_b64 s[4:5], s[0:1]
	s_waitcnt vmcnt(0)
	v_cmp_ne_u16_e32 vcc_lo, 0, v3
	s_cbranch_vccnz .LBB1_143
; %bb.144:
	s_getpc_b64 s[4:5]
	s_add_u32 s4, s4, .str.1@rel32@lo+4
	s_addc_u32 s5, s5, .str.1@rel32@hi+12
	s_delay_alu instid0(SALU_CYCLE_1)
	s_cmp_lg_u64 s[4:5], 0
	s_cbranch_scc0 .LBB1_222
; %bb.145:
	v_dual_mov_b32 v10, 0 :: v_dual_and_b32 v33, 2, v0
	v_dual_mov_b32 v7, v1 :: v_dual_and_b32 v6, -3, v0
	v_dual_mov_b32 v11, 2 :: v_dual_mov_b32 v12, 1
	s_sub_i32 s6, s0, s4
	s_delay_alu instid0(SALU_CYCLE_1)
	s_ashr_i32 s7, s6, 31
	s_branch .LBB1_147
.LBB1_146:                              ;   in Loop: Header=BB1_147 Depth=1
	s_or_b32 exec_lo, exec_lo, s1
	s_sub_u32 s6, s6, s10
	s_subb_u32 s7, s7, s11
	s_add_u32 s4, s4, s10
	s_addc_u32 s5, s5, s11
	s_cmp_lg_u64 s[6:7], 0
	s_cbranch_scc0 .LBB1_223
.LBB1_147:                              ; =>This Loop Header: Depth=1
                                        ;     Child Loop BB1_156 Depth 2
                                        ;     Child Loop BB1_152 Depth 2
                                        ;     Child Loop BB1_164 Depth 2
                                        ;     Child Loop BB1_171 Depth 2
                                        ;     Child Loop BB1_178 Depth 2
                                        ;     Child Loop BB1_185 Depth 2
                                        ;     Child Loop BB1_192 Depth 2
                                        ;     Child Loop BB1_199 Depth 2
                                        ;     Child Loop BB1_207 Depth 2
                                        ;     Child Loop BB1_216 Depth 2
                                        ;     Child Loop BB1_221 Depth 2
	v_cmp_lt_u64_e64 s0, s[6:7], 56
	v_cmp_gt_u64_e64 s1, s[6:7], 7
                                        ; implicit-def: $vgpr15_vgpr16
                                        ; implicit-def: $sgpr16
	s_delay_alu instid0(VALU_DEP_2) | instskip(SKIP_2) | instid1(VALU_DEP_1)
	s_and_b32 s0, s0, exec_lo
	s_cselect_b32 s11, s7, 0
	s_cselect_b32 s10, s6, 56
	s_and_b32 vcc_lo, exec_lo, s1
	s_mov_b32 s0, -1
	s_cbranch_vccz .LBB1_154
; %bb.148:                              ;   in Loop: Header=BB1_147 Depth=1
	s_and_not1_b32 vcc_lo, exec_lo, s0
	s_mov_b64 s[0:1], s[4:5]
	s_cbranch_vccz .LBB1_158
.LBB1_149:                              ;   in Loop: Header=BB1_147 Depth=1
	s_cmp_gt_u32 s16, 7
	s_cbranch_scc1 .LBB1_159
.LBB1_150:                              ;   in Loop: Header=BB1_147 Depth=1
	v_mov_b32_e32 v17, 0
	v_mov_b32_e32 v18, 0
	s_cmp_eq_u32 s16, 0
	s_cbranch_scc1 .LBB1_153
; %bb.151:                              ;   in Loop: Header=BB1_147 Depth=1
	s_mov_b64 s[12:13], 0
	s_mov_b64 s[14:15], 0
.LBB1_152:                              ;   Parent Loop BB1_147 Depth=1
                                        ; =>  This Inner Loop Header: Depth=2
	s_delay_alu instid0(SALU_CYCLE_1)
	s_add_u32 s18, s0, s14
	s_addc_u32 s19, s1, s15
	s_add_u32 s14, s14, 1
	global_load_u8 v2, v10, s[18:19]
	s_addc_u32 s15, s15, 0
	s_waitcnt vmcnt(0)
	v_and_b32_e32 v9, 0xffff, v2
	s_delay_alu instid0(VALU_DEP_1) | instskip(SKIP_3) | instid1(VALU_DEP_1)
	v_lshlrev_b64 v[2:3], s12, v[9:10]
	s_add_u32 s12, s12, 8
	s_addc_u32 s13, s13, 0
	s_cmp_lg_u32 s16, s14
	v_or_b32_e32 v17, v2, v17
	s_delay_alu instid0(VALU_DEP_2)
	v_or_b32_e32 v18, v3, v18
	s_cbranch_scc1 .LBB1_152
.LBB1_153:                              ;   in Loop: Header=BB1_147 Depth=1
	s_mov_b32 s17, 0
	s_cbranch_execz .LBB1_160
	s_branch .LBB1_161
.LBB1_154:                              ;   in Loop: Header=BB1_147 Depth=1
	v_mov_b32_e32 v15, 0
	v_mov_b32_e32 v16, 0
	s_cmp_eq_u64 s[6:7], 0
	s_mov_b64 s[0:1], 0
	s_cbranch_scc1 .LBB1_157
; %bb.155:                              ;   in Loop: Header=BB1_147 Depth=1
	v_mov_b32_e32 v15, 0
	v_mov_b32_e32 v16, 0
	s_lshl_b64 s[12:13], s[10:11], 3
	s_mov_b64 s[14:15], s[4:5]
.LBB1_156:                              ;   Parent Loop BB1_147 Depth=1
                                        ; =>  This Inner Loop Header: Depth=2
	global_load_u8 v2, v10, s[14:15]
	s_waitcnt vmcnt(0)
	v_and_b32_e32 v9, 0xffff, v2
	s_delay_alu instid0(VALU_DEP_1)
	v_lshlrev_b64 v[2:3], s0, v[9:10]
	s_add_u32 s0, s0, 8
	s_addc_u32 s1, s1, 0
	s_add_u32 s14, s14, 1
	s_addc_u32 s15, s15, 0
	s_cmp_lg_u32 s12, s0
	v_or_b32_e32 v15, v2, v15
	v_or_b32_e32 v16, v3, v16
	s_cbranch_scc1 .LBB1_156
.LBB1_157:                              ;   in Loop: Header=BB1_147 Depth=1
	s_mov_b32 s16, 0
	s_mov_b64 s[0:1], s[4:5]
	s_cbranch_execnz .LBB1_149
.LBB1_158:                              ;   in Loop: Header=BB1_147 Depth=1
	global_load_b64 v[15:16], v10, s[4:5]
	s_add_i32 s16, s10, -8
	s_add_u32 s0, s4, 8
	s_addc_u32 s1, s5, 0
	s_cmp_gt_u32 s16, 7
	s_cbranch_scc0 .LBB1_150
.LBB1_159:                              ;   in Loop: Header=BB1_147 Depth=1
                                        ; implicit-def: $vgpr17_vgpr18
                                        ; implicit-def: $sgpr17
.LBB1_160:                              ;   in Loop: Header=BB1_147 Depth=1
	global_load_b64 v[17:18], v10, s[0:1]
	s_add_i32 s17, s16, -8
	s_add_u32 s0, s0, 8
	s_addc_u32 s1, s1, 0
.LBB1_161:                              ;   in Loop: Header=BB1_147 Depth=1
	s_cmp_gt_u32 s17, 7
	s_cbranch_scc1 .LBB1_166
; %bb.162:                              ;   in Loop: Header=BB1_147 Depth=1
	v_mov_b32_e32 v19, 0
	v_mov_b32_e32 v20, 0
	s_cmp_eq_u32 s17, 0
	s_cbranch_scc1 .LBB1_165
; %bb.163:                              ;   in Loop: Header=BB1_147 Depth=1
	s_mov_b64 s[12:13], 0
	s_mov_b64 s[14:15], 0
.LBB1_164:                              ;   Parent Loop BB1_147 Depth=1
                                        ; =>  This Inner Loop Header: Depth=2
	s_delay_alu instid0(SALU_CYCLE_1)
	s_add_u32 s18, s0, s14
	s_addc_u32 s19, s1, s15
	s_add_u32 s14, s14, 1
	global_load_u8 v2, v10, s[18:19]
	s_addc_u32 s15, s15, 0
	s_waitcnt vmcnt(0)
	v_and_b32_e32 v9, 0xffff, v2
	s_delay_alu instid0(VALU_DEP_1) | instskip(SKIP_3) | instid1(VALU_DEP_1)
	v_lshlrev_b64 v[2:3], s12, v[9:10]
	s_add_u32 s12, s12, 8
	s_addc_u32 s13, s13, 0
	s_cmp_lg_u32 s17, s14
	v_or_b32_e32 v19, v2, v19
	s_delay_alu instid0(VALU_DEP_2)
	v_or_b32_e32 v20, v3, v20
	s_cbranch_scc1 .LBB1_164
.LBB1_165:                              ;   in Loop: Header=BB1_147 Depth=1
	s_mov_b32 s16, 0
	s_cbranch_execz .LBB1_167
	s_branch .LBB1_168
.LBB1_166:                              ;   in Loop: Header=BB1_147 Depth=1
                                        ; implicit-def: $sgpr16
.LBB1_167:                              ;   in Loop: Header=BB1_147 Depth=1
	global_load_b64 v[19:20], v10, s[0:1]
	s_add_i32 s16, s17, -8
	s_add_u32 s0, s0, 8
	s_addc_u32 s1, s1, 0
.LBB1_168:                              ;   in Loop: Header=BB1_147 Depth=1
	s_cmp_gt_u32 s16, 7
	s_cbranch_scc1 .LBB1_173
; %bb.169:                              ;   in Loop: Header=BB1_147 Depth=1
	v_mov_b32_e32 v21, 0
	v_mov_b32_e32 v22, 0
	s_cmp_eq_u32 s16, 0
	s_cbranch_scc1 .LBB1_172
; %bb.170:                              ;   in Loop: Header=BB1_147 Depth=1
	s_mov_b64 s[12:13], 0
	s_mov_b64 s[14:15], 0
.LBB1_171:                              ;   Parent Loop BB1_147 Depth=1
                                        ; =>  This Inner Loop Header: Depth=2
	s_delay_alu instid0(SALU_CYCLE_1)
	s_add_u32 s18, s0, s14
	s_addc_u32 s19, s1, s15
	s_add_u32 s14, s14, 1
	global_load_u8 v2, v10, s[18:19]
	s_addc_u32 s15, s15, 0
	s_waitcnt vmcnt(0)
	v_and_b32_e32 v9, 0xffff, v2
	s_delay_alu instid0(VALU_DEP_1) | instskip(SKIP_3) | instid1(VALU_DEP_1)
	v_lshlrev_b64 v[2:3], s12, v[9:10]
	s_add_u32 s12, s12, 8
	s_addc_u32 s13, s13, 0
	s_cmp_lg_u32 s16, s14
	v_or_b32_e32 v21, v2, v21
	s_delay_alu instid0(VALU_DEP_2)
	v_or_b32_e32 v22, v3, v22
	s_cbranch_scc1 .LBB1_171
.LBB1_172:                              ;   in Loop: Header=BB1_147 Depth=1
	s_mov_b32 s17, 0
	s_cbranch_execz .LBB1_174
	s_branch .LBB1_175
.LBB1_173:                              ;   in Loop: Header=BB1_147 Depth=1
                                        ; implicit-def: $vgpr21_vgpr22
                                        ; implicit-def: $sgpr17
.LBB1_174:                              ;   in Loop: Header=BB1_147 Depth=1
	global_load_b64 v[21:22], v10, s[0:1]
	s_add_i32 s17, s16, -8
	s_add_u32 s0, s0, 8
	s_addc_u32 s1, s1, 0
.LBB1_175:                              ;   in Loop: Header=BB1_147 Depth=1
	s_cmp_gt_u32 s17, 7
	s_cbranch_scc1 .LBB1_180
; %bb.176:                              ;   in Loop: Header=BB1_147 Depth=1
	v_mov_b32_e32 v23, 0
	v_mov_b32_e32 v24, 0
	s_cmp_eq_u32 s17, 0
	s_cbranch_scc1 .LBB1_179
; %bb.177:                              ;   in Loop: Header=BB1_147 Depth=1
	s_mov_b64 s[12:13], 0
	s_mov_b64 s[14:15], 0
.LBB1_178:                              ;   Parent Loop BB1_147 Depth=1
                                        ; =>  This Inner Loop Header: Depth=2
	s_delay_alu instid0(SALU_CYCLE_1)
	s_add_u32 s18, s0, s14
	s_addc_u32 s19, s1, s15
	s_add_u32 s14, s14, 1
	global_load_u8 v2, v10, s[18:19]
	s_addc_u32 s15, s15, 0
	s_waitcnt vmcnt(0)
	v_and_b32_e32 v9, 0xffff, v2
	s_delay_alu instid0(VALU_DEP_1) | instskip(SKIP_3) | instid1(VALU_DEP_1)
	v_lshlrev_b64 v[2:3], s12, v[9:10]
	s_add_u32 s12, s12, 8
	s_addc_u32 s13, s13, 0
	s_cmp_lg_u32 s17, s14
	v_or_b32_e32 v23, v2, v23
	s_delay_alu instid0(VALU_DEP_2)
	v_or_b32_e32 v24, v3, v24
	s_cbranch_scc1 .LBB1_178
.LBB1_179:                              ;   in Loop: Header=BB1_147 Depth=1
	s_mov_b32 s16, 0
	s_cbranch_execz .LBB1_181
	s_branch .LBB1_182
.LBB1_180:                              ;   in Loop: Header=BB1_147 Depth=1
                                        ; implicit-def: $sgpr16
.LBB1_181:                              ;   in Loop: Header=BB1_147 Depth=1
	global_load_b64 v[23:24], v10, s[0:1]
	s_add_i32 s16, s17, -8
	s_add_u32 s0, s0, 8
	s_addc_u32 s1, s1, 0
.LBB1_182:                              ;   in Loop: Header=BB1_147 Depth=1
	s_cmp_gt_u32 s16, 7
	s_cbranch_scc1 .LBB1_187
; %bb.183:                              ;   in Loop: Header=BB1_147 Depth=1
	v_mov_b32_e32 v25, 0
	v_mov_b32_e32 v26, 0
	s_cmp_eq_u32 s16, 0
	s_cbranch_scc1 .LBB1_186
; %bb.184:                              ;   in Loop: Header=BB1_147 Depth=1
	s_mov_b64 s[12:13], 0
	s_mov_b64 s[14:15], 0
.LBB1_185:                              ;   Parent Loop BB1_147 Depth=1
                                        ; =>  This Inner Loop Header: Depth=2
	s_delay_alu instid0(SALU_CYCLE_1)
	s_add_u32 s18, s0, s14
	s_addc_u32 s19, s1, s15
	s_add_u32 s14, s14, 1
	global_load_u8 v2, v10, s[18:19]
	s_addc_u32 s15, s15, 0
	s_waitcnt vmcnt(0)
	v_and_b32_e32 v9, 0xffff, v2
	s_delay_alu instid0(VALU_DEP_1) | instskip(SKIP_3) | instid1(VALU_DEP_1)
	v_lshlrev_b64 v[2:3], s12, v[9:10]
	s_add_u32 s12, s12, 8
	s_addc_u32 s13, s13, 0
	s_cmp_lg_u32 s16, s14
	v_or_b32_e32 v25, v2, v25
	s_delay_alu instid0(VALU_DEP_2)
	v_or_b32_e32 v26, v3, v26
	s_cbranch_scc1 .LBB1_185
.LBB1_186:                              ;   in Loop: Header=BB1_147 Depth=1
	s_mov_b32 s17, 0
	s_cbranch_execz .LBB1_188
	s_branch .LBB1_189
.LBB1_187:                              ;   in Loop: Header=BB1_147 Depth=1
                                        ; implicit-def: $vgpr25_vgpr26
                                        ; implicit-def: $sgpr17
.LBB1_188:                              ;   in Loop: Header=BB1_147 Depth=1
	global_load_b64 v[25:26], v10, s[0:1]
	s_add_i32 s17, s16, -8
	s_add_u32 s0, s0, 8
	s_addc_u32 s1, s1, 0
.LBB1_189:                              ;   in Loop: Header=BB1_147 Depth=1
	s_cmp_gt_u32 s17, 7
	s_cbranch_scc1 .LBB1_194
; %bb.190:                              ;   in Loop: Header=BB1_147 Depth=1
	v_mov_b32_e32 v27, 0
	v_mov_b32_e32 v28, 0
	s_cmp_eq_u32 s17, 0
	s_cbranch_scc1 .LBB1_193
; %bb.191:                              ;   in Loop: Header=BB1_147 Depth=1
	s_mov_b64 s[12:13], 0
	s_mov_b64 s[14:15], s[0:1]
.LBB1_192:                              ;   Parent Loop BB1_147 Depth=1
                                        ; =>  This Inner Loop Header: Depth=2
	global_load_u8 v2, v10, s[14:15]
	s_add_i32 s17, s17, -1
	s_waitcnt vmcnt(0)
	v_and_b32_e32 v9, 0xffff, v2
	s_delay_alu instid0(VALU_DEP_1)
	v_lshlrev_b64 v[2:3], s12, v[9:10]
	s_add_u32 s12, s12, 8
	s_addc_u32 s13, s13, 0
	s_add_u32 s14, s14, 1
	s_addc_u32 s15, s15, 0
	s_cmp_lg_u32 s17, 0
	v_or_b32_e32 v27, v2, v27
	v_or_b32_e32 v28, v3, v28
	s_cbranch_scc1 .LBB1_192
.LBB1_193:                              ;   in Loop: Header=BB1_147 Depth=1
	s_cbranch_execz .LBB1_195
	s_branch .LBB1_196
.LBB1_194:                              ;   in Loop: Header=BB1_147 Depth=1
.LBB1_195:                              ;   in Loop: Header=BB1_147 Depth=1
	global_load_b64 v[27:28], v10, s[0:1]
.LBB1_196:                              ;   in Loop: Header=BB1_147 Depth=1
	v_readfirstlane_b32 s0, v35
	v_mov_b32_e32 v2, 0
	v_mov_b32_e32 v3, 0
	s_delay_alu instid0(VALU_DEP_3) | instskip(NEXT) | instid1(VALU_DEP_1)
	v_cmp_eq_u32_e64 s0, s0, v35
	s_and_saveexec_b32 s1, s0
	s_cbranch_execz .LBB1_202
; %bb.197:                              ;   in Loop: Header=BB1_147 Depth=1
	global_load_b64 v[31:32], v10, s[2:3] offset:24 glc
	s_waitcnt vmcnt(0)
	buffer_gl1_inv
	buffer_gl0_inv
	s_clause 0x1
	global_load_b64 v[2:3], v10, s[2:3] offset:40
	global_load_b64 v[8:9], v10, s[2:3]
	s_mov_b32 s12, exec_lo
	s_waitcnt vmcnt(1)
	v_and_b32_e32 v3, v3, v32
	v_and_b32_e32 v2, v2, v31
	s_delay_alu instid0(VALU_DEP_2) | instskip(NEXT) | instid1(VALU_DEP_2)
	v_mul_lo_u32 v3, v3, 24
	v_mul_hi_u32 v13, v2, 24
	v_mul_lo_u32 v2, v2, 24
	s_delay_alu instid0(VALU_DEP_2) | instskip(SKIP_1) | instid1(VALU_DEP_2)
	v_add_nc_u32_e32 v3, v13, v3
	s_waitcnt vmcnt(0)
	v_add_co_u32 v2, vcc_lo, v8, v2
	s_delay_alu instid0(VALU_DEP_2)
	v_add_co_ci_u32_e32 v3, vcc_lo, v9, v3, vcc_lo
	global_load_b64 v[29:30], v[2:3], off glc
	s_waitcnt vmcnt(0)
	global_atomic_cmpswap_b64 v[2:3], v10, v[29:32], s[2:3] offset:24 glc
	s_waitcnt vmcnt(0)
	buffer_gl1_inv
	buffer_gl0_inv
	v_cmpx_ne_u64_e64 v[2:3], v[31:32]
	s_cbranch_execz .LBB1_201
; %bb.198:                              ;   in Loop: Header=BB1_147 Depth=1
	s_mov_b32 s13, 0
	.p2align	6
.LBB1_199:                              ;   Parent Loop BB1_147 Depth=1
                                        ; =>  This Inner Loop Header: Depth=2
	s_sleep 1
	s_clause 0x1
	global_load_b64 v[8:9], v10, s[2:3] offset:40
	global_load_b64 v[13:14], v10, s[2:3]
	v_dual_mov_b32 v32, v3 :: v_dual_mov_b32 v31, v2
	s_waitcnt vmcnt(1)
	s_delay_alu instid0(VALU_DEP_1) | instskip(SKIP_1) | instid1(VALU_DEP_1)
	v_and_b32_e32 v8, v8, v31
	s_waitcnt vmcnt(0)
	v_mad_u64_u32 v[2:3], null, v8, 24, v[13:14]
	v_and_b32_e32 v13, v9, v32
	s_delay_alu instid0(VALU_DEP_1) | instskip(NEXT) | instid1(VALU_DEP_1)
	v_mad_u64_u32 v[8:9], null, v13, 24, v[3:4]
	v_mov_b32_e32 v3, v8
	global_load_b64 v[29:30], v[2:3], off glc
	s_waitcnt vmcnt(0)
	global_atomic_cmpswap_b64 v[2:3], v10, v[29:32], s[2:3] offset:24 glc
	s_waitcnt vmcnt(0)
	buffer_gl1_inv
	buffer_gl0_inv
	v_cmp_eq_u64_e32 vcc_lo, v[2:3], v[31:32]
	s_or_b32 s13, vcc_lo, s13
	s_delay_alu instid0(SALU_CYCLE_1)
	s_and_not1_b32 exec_lo, exec_lo, s13
	s_cbranch_execnz .LBB1_199
; %bb.200:                              ;   in Loop: Header=BB1_147 Depth=1
	s_or_b32 exec_lo, exec_lo, s13
.LBB1_201:                              ;   in Loop: Header=BB1_147 Depth=1
	s_delay_alu instid0(SALU_CYCLE_1)
	s_or_b32 exec_lo, exec_lo, s12
.LBB1_202:                              ;   in Loop: Header=BB1_147 Depth=1
	s_delay_alu instid0(SALU_CYCLE_1)
	s_or_b32 exec_lo, exec_lo, s1
	s_clause 0x1
	global_load_b64 v[8:9], v10, s[2:3] offset:40
	global_load_b128 v[29:32], v10, s[2:3]
	v_readfirstlane_b32 s12, v2
	v_readfirstlane_b32 s13, v3
	s_mov_b32 s1, exec_lo
	s_waitcnt vmcnt(1)
	v_readfirstlane_b32 s14, v8
	v_readfirstlane_b32 s15, v9
	s_delay_alu instid0(VALU_DEP_1) | instskip(NEXT) | instid1(SALU_CYCLE_1)
	s_and_b64 s[14:15], s[12:13], s[14:15]
	s_mul_i32 s16, s15, 24
	s_mul_hi_u32 s17, s14, 24
	s_mul_i32 s18, s14, 24
	s_add_i32 s17, s17, s16
	s_waitcnt vmcnt(0)
	v_add_co_u32 v2, vcc_lo, v29, s18
	v_add_co_ci_u32_e32 v3, vcc_lo, s17, v30, vcc_lo
	s_and_saveexec_b32 s16, s0
	s_cbranch_execz .LBB1_204
; %bb.203:                              ;   in Loop: Header=BB1_147 Depth=1
	v_mov_b32_e32 v9, s1
	global_store_b128 v[2:3], v[9:12], off offset:8
.LBB1_204:                              ;   in Loop: Header=BB1_147 Depth=1
	s_or_b32 exec_lo, exec_lo, s16
	s_lshl_b64 s[14:15], s[14:15], 12
	v_cmp_gt_u64_e64 vcc_lo, s[6:7], 56
	v_or_b32_e32 v9, v6, v33
	v_add_co_u32 v31, s1, v31, s14
	s_delay_alu instid0(VALU_DEP_1)
	v_add_co_ci_u32_e64 v32, s1, s15, v32, s1
	s_lshl_b32 s1, s10, 2
	v_or_b32_e32 v8, 0, v7
	v_cndmask_b32_e32 v6, v9, v6, vcc_lo
	s_add_i32 s1, s1, 28
	v_readfirstlane_b32 s14, v31
	s_and_b32 s1, s1, 0x1e0
	v_cndmask_b32_e32 v14, v8, v7, vcc_lo
	v_readfirstlane_b32 s15, v32
	v_and_or_b32 v13, 0xffffff1f, v6, s1
	s_clause 0x3
	global_store_b128 v34, v[13:16], s[14:15]
	global_store_b128 v34, v[17:20], s[14:15] offset:16
	global_store_b128 v34, v[21:24], s[14:15] offset:32
	;; [unrolled: 1-line block ×3, first 2 shown]
	s_and_saveexec_b32 s1, s0
	s_cbranch_execz .LBB1_212
; %bb.205:                              ;   in Loop: Header=BB1_147 Depth=1
	s_clause 0x1
	global_load_b64 v[17:18], v10, s[2:3] offset:32 glc
	global_load_b64 v[6:7], v10, s[2:3] offset:40
	v_dual_mov_b32 v15, s12 :: v_dual_mov_b32 v16, s13
	s_waitcnt vmcnt(0)
	v_readfirstlane_b32 s14, v6
	v_readfirstlane_b32 s15, v7
	s_delay_alu instid0(VALU_DEP_1) | instskip(NEXT) | instid1(SALU_CYCLE_1)
	s_and_b64 s[14:15], s[14:15], s[12:13]
	s_mul_i32 s15, s15, 24
	s_mul_hi_u32 s16, s14, 24
	s_mul_i32 s14, s14, 24
	s_add_i32 s16, s16, s15
	v_add_co_u32 v13, vcc_lo, v29, s14
	v_add_co_ci_u32_e32 v14, vcc_lo, s16, v30, vcc_lo
	s_mov_b32 s14, exec_lo
	global_store_b64 v[13:14], v[17:18], off
	s_waitcnt_vscnt null, 0x0
	global_atomic_cmpswap_b64 v[8:9], v10, v[15:18], s[2:3] offset:32 glc
	s_waitcnt vmcnt(0)
	v_cmpx_ne_u64_e64 v[8:9], v[17:18]
	s_cbranch_execz .LBB1_208
; %bb.206:                              ;   in Loop: Header=BB1_147 Depth=1
	s_mov_b32 s15, 0
.LBB1_207:                              ;   Parent Loop BB1_147 Depth=1
                                        ; =>  This Inner Loop Header: Depth=2
	v_dual_mov_b32 v6, s12 :: v_dual_mov_b32 v7, s13
	s_sleep 1
	global_store_b64 v[13:14], v[8:9], off
	s_waitcnt_vscnt null, 0x0
	global_atomic_cmpswap_b64 v[6:7], v10, v[6:9], s[2:3] offset:32 glc
	s_waitcnt vmcnt(0)
	v_cmp_eq_u64_e32 vcc_lo, v[6:7], v[8:9]
	v_dual_mov_b32 v9, v7 :: v_dual_mov_b32 v8, v6
	s_or_b32 s15, vcc_lo, s15
	s_delay_alu instid0(SALU_CYCLE_1)
	s_and_not1_b32 exec_lo, exec_lo, s15
	s_cbranch_execnz .LBB1_207
.LBB1_208:                              ;   in Loop: Header=BB1_147 Depth=1
	s_or_b32 exec_lo, exec_lo, s14
	global_load_b64 v[6:7], v10, s[2:3] offset:16
	s_mov_b32 s15, exec_lo
	s_mov_b32 s14, exec_lo
	v_mbcnt_lo_u32_b32 v8, s15, 0
	s_delay_alu instid0(VALU_DEP_1)
	v_cmpx_eq_u32_e32 0, v8
	s_cbranch_execz .LBB1_210
; %bb.209:                              ;   in Loop: Header=BB1_147 Depth=1
	s_bcnt1_i32_b32 s15, s15
	s_delay_alu instid0(SALU_CYCLE_1)
	v_mov_b32_e32 v9, s15
	s_waitcnt vmcnt(0)
	global_atomic_add_u64 v[6:7], v[9:10], off offset:8
.LBB1_210:                              ;   in Loop: Header=BB1_147 Depth=1
	s_or_b32 exec_lo, exec_lo, s14
	s_waitcnt vmcnt(0)
	global_load_b64 v[13:14], v[6:7], off offset:16
	s_waitcnt vmcnt(0)
	v_cmp_eq_u64_e32 vcc_lo, 0, v[13:14]
	s_cbranch_vccnz .LBB1_212
; %bb.211:                              ;   in Loop: Header=BB1_147 Depth=1
	global_load_b32 v9, v[6:7], off offset:24
	s_waitcnt vmcnt(0)
	v_and_b32_e32 v6, 0xffffff, v9
	s_waitcnt_vscnt null, 0x0
	global_store_b64 v[13:14], v[9:10], off
	v_readfirstlane_b32 m0, v6
	s_sendmsg sendmsg(MSG_INTERRUPT)
.LBB1_212:                              ;   in Loop: Header=BB1_147 Depth=1
	s_or_b32 exec_lo, exec_lo, s1
	v_add_co_u32 v6, vcc_lo, v31, v34
	v_add_co_ci_u32_e32 v7, vcc_lo, 0, v32, vcc_lo
	s_branch .LBB1_216
	.p2align	6
.LBB1_213:                              ;   in Loop: Header=BB1_216 Depth=2
	s_or_b32 exec_lo, exec_lo, s1
	s_delay_alu instid0(VALU_DEP_1) | instskip(NEXT) | instid1(VALU_DEP_1)
	v_readfirstlane_b32 s1, v8
	s_cmp_eq_u32 s1, 0
	s_cbranch_scc1 .LBB1_215
; %bb.214:                              ;   in Loop: Header=BB1_216 Depth=2
	s_sleep 1
	s_cbranch_execnz .LBB1_216
	s_branch .LBB1_218
	.p2align	6
.LBB1_215:                              ;   in Loop: Header=BB1_147 Depth=1
	s_branch .LBB1_218
.LBB1_216:                              ;   Parent Loop BB1_147 Depth=1
                                        ; =>  This Inner Loop Header: Depth=2
	v_mov_b32_e32 v8, 1
	s_and_saveexec_b32 s1, s0
	s_cbranch_execz .LBB1_213
; %bb.217:                              ;   in Loop: Header=BB1_216 Depth=2
	global_load_b32 v8, v[2:3], off offset:20 glc
	s_waitcnt vmcnt(0)
	buffer_gl1_inv
	buffer_gl0_inv
	v_and_b32_e32 v8, 1, v8
	s_branch .LBB1_213
.LBB1_218:                              ;   in Loop: Header=BB1_147 Depth=1
	global_load_b128 v[6:9], v[6:7], off
	s_and_saveexec_b32 s1, s0
	s_cbranch_execz .LBB1_146
; %bb.219:                              ;   in Loop: Header=BB1_147 Depth=1
	s_clause 0x2
	global_load_b64 v[2:3], v10, s[2:3] offset:40
	global_load_b64 v[8:9], v10, s[2:3] offset:24 glc
	global_load_b64 v[15:16], v10, s[2:3]
	s_waitcnt vmcnt(2)
	v_add_co_u32 v17, vcc_lo, v2, 1
	v_add_co_ci_u32_e32 v18, vcc_lo, 0, v3, vcc_lo
	s_delay_alu instid0(VALU_DEP_2) | instskip(NEXT) | instid1(VALU_DEP_2)
	v_add_co_u32 v13, vcc_lo, v17, s12
	v_add_co_ci_u32_e32 v14, vcc_lo, s13, v18, vcc_lo
	s_delay_alu instid0(VALU_DEP_1) | instskip(SKIP_1) | instid1(VALU_DEP_1)
	v_cmp_eq_u64_e32 vcc_lo, 0, v[13:14]
	v_dual_cndmask_b32 v14, v14, v18 :: v_dual_cndmask_b32 v13, v13, v17
	v_and_b32_e32 v3, v14, v3
	s_delay_alu instid0(VALU_DEP_2) | instskip(NEXT) | instid1(VALU_DEP_2)
	v_and_b32_e32 v2, v13, v2
	v_mul_lo_u32 v3, v3, 24
	s_delay_alu instid0(VALU_DEP_2) | instskip(SKIP_1) | instid1(VALU_DEP_2)
	v_mul_hi_u32 v17, v2, 24
	v_mul_lo_u32 v2, v2, 24
	v_add_nc_u32_e32 v3, v17, v3
	s_waitcnt vmcnt(0)
	s_delay_alu instid0(VALU_DEP_2) | instskip(SKIP_1) | instid1(VALU_DEP_3)
	v_add_co_u32 v2, vcc_lo, v15, v2
	v_mov_b32_e32 v15, v8
	v_add_co_ci_u32_e32 v3, vcc_lo, v16, v3, vcc_lo
	v_mov_b32_e32 v16, v9
	global_store_b64 v[2:3], v[8:9], off
	s_waitcnt_vscnt null, 0x0
	global_atomic_cmpswap_b64 v[15:16], v10, v[13:16], s[2:3] offset:24 glc
	s_waitcnt vmcnt(0)
	v_cmp_ne_u64_e32 vcc_lo, v[15:16], v[8:9]
	s_and_b32 exec_lo, exec_lo, vcc_lo
	s_cbranch_execz .LBB1_146
; %bb.220:                              ;   in Loop: Header=BB1_147 Depth=1
	s_mov_b32 s0, 0
.LBB1_221:                              ;   Parent Loop BB1_147 Depth=1
                                        ; =>  This Inner Loop Header: Depth=2
	s_sleep 1
	global_store_b64 v[2:3], v[15:16], off
	s_waitcnt_vscnt null, 0x0
	global_atomic_cmpswap_b64 v[8:9], v10, v[13:16], s[2:3] offset:24 glc
	s_waitcnt vmcnt(0)
	v_cmp_eq_u64_e32 vcc_lo, v[8:9], v[15:16]
	v_dual_mov_b32 v16, v9 :: v_dual_mov_b32 v15, v8
	s_or_b32 s0, vcc_lo, s0
	s_delay_alu instid0(SALU_CYCLE_1)
	s_and_not1_b32 exec_lo, exec_lo, s0
	s_cbranch_execnz .LBB1_221
	s_branch .LBB1_146
.LBB1_222:
                                        ; implicit-def: $vgpr6_vgpr7
	s_cbranch_execnz .LBB1_224
	s_branch .LBB1_251
.LBB1_223:
	s_branch .LBB1_251
.LBB1_224:
	v_readfirstlane_b32 s0, v35
	v_mov_b32_e32 v10, 0
	v_mov_b32_e32 v11, 0
	s_delay_alu instid0(VALU_DEP_3) | instskip(NEXT) | instid1(VALU_DEP_1)
	v_cmp_eq_u32_e64 s0, s0, v35
	s_and_saveexec_b32 s1, s0
	s_cbranch_execz .LBB1_230
; %bb.225:
	v_mov_b32_e32 v2, 0
	s_mov_b32 s4, exec_lo
	global_load_b64 v[8:9], v2, s[2:3] offset:24 glc
	s_waitcnt vmcnt(0)
	buffer_gl1_inv
	buffer_gl0_inv
	s_clause 0x1
	global_load_b64 v[6:7], v2, s[2:3] offset:40
	global_load_b64 v[10:11], v2, s[2:3]
	s_waitcnt vmcnt(1)
	v_and_b32_e32 v3, v7, v9
	v_and_b32_e32 v6, v6, v8
	s_delay_alu instid0(VALU_DEP_2) | instskip(NEXT) | instid1(VALU_DEP_2)
	v_mul_lo_u32 v3, v3, 24
	v_mul_hi_u32 v7, v6, 24
	v_mul_lo_u32 v6, v6, 24
	s_delay_alu instid0(VALU_DEP_2) | instskip(SKIP_1) | instid1(VALU_DEP_2)
	v_add_nc_u32_e32 v3, v7, v3
	s_waitcnt vmcnt(0)
	v_add_co_u32 v6, vcc_lo, v10, v6
	s_delay_alu instid0(VALU_DEP_2)
	v_add_co_ci_u32_e32 v7, vcc_lo, v11, v3, vcc_lo
	global_load_b64 v[6:7], v[6:7], off glc
	s_waitcnt vmcnt(0)
	global_atomic_cmpswap_b64 v[10:11], v2, v[6:9], s[2:3] offset:24 glc
	s_waitcnt vmcnt(0)
	buffer_gl1_inv
	buffer_gl0_inv
	v_cmpx_ne_u64_e64 v[10:11], v[8:9]
	s_cbranch_execz .LBB1_229
; %bb.226:
	s_mov_b32 s5, 0
	.p2align	6
.LBB1_227:                              ; =>This Inner Loop Header: Depth=1
	s_sleep 1
	s_clause 0x1
	global_load_b64 v[6:7], v2, s[2:3] offset:40
	global_load_b64 v[12:13], v2, s[2:3]
	v_dual_mov_b32 v8, v10 :: v_dual_mov_b32 v9, v11
	s_waitcnt vmcnt(1)
	s_delay_alu instid0(VALU_DEP_1) | instskip(SKIP_1) | instid1(VALU_DEP_1)
	v_and_b32_e32 v3, v6, v8
	s_waitcnt vmcnt(0)
	v_mad_u64_u32 v[10:11], null, v3, 24, v[12:13]
	v_and_b32_e32 v12, v7, v9
	s_delay_alu instid0(VALU_DEP_2) | instskip(NEXT) | instid1(VALU_DEP_1)
	v_mov_b32_e32 v3, v11
	v_mad_u64_u32 v[6:7], null, v12, 24, v[3:4]
	s_delay_alu instid0(VALU_DEP_1)
	v_mov_b32_e32 v11, v6
	global_load_b64 v[6:7], v[10:11], off glc
	s_waitcnt vmcnt(0)
	global_atomic_cmpswap_b64 v[10:11], v2, v[6:9], s[2:3] offset:24 glc
	s_waitcnt vmcnt(0)
	buffer_gl1_inv
	buffer_gl0_inv
	v_cmp_eq_u64_e32 vcc_lo, v[10:11], v[8:9]
	s_or_b32 s5, vcc_lo, s5
	s_delay_alu instid0(SALU_CYCLE_1)
	s_and_not1_b32 exec_lo, exec_lo, s5
	s_cbranch_execnz .LBB1_227
; %bb.228:
	s_or_b32 exec_lo, exec_lo, s5
.LBB1_229:
	s_delay_alu instid0(SALU_CYCLE_1)
	s_or_b32 exec_lo, exec_lo, s4
.LBB1_230:
	s_delay_alu instid0(SALU_CYCLE_1)
	s_or_b32 exec_lo, exec_lo, s1
	v_mov_b32_e32 v2, 0
	v_readfirstlane_b32 s4, v10
	v_readfirstlane_b32 s5, v11
	s_mov_b32 s1, exec_lo
	s_clause 0x1
	global_load_b64 v[12:13], v2, s[2:3] offset:40
	global_load_b128 v[6:9], v2, s[2:3]
	s_waitcnt vmcnt(1)
	v_readfirstlane_b32 s6, v12
	v_readfirstlane_b32 s7, v13
	s_delay_alu instid0(VALU_DEP_1) | instskip(NEXT) | instid1(SALU_CYCLE_1)
	s_and_b64 s[6:7], s[4:5], s[6:7]
	s_mul_i32 s10, s7, 24
	s_mul_hi_u32 s11, s6, 24
	s_mul_i32 s12, s6, 24
	s_add_i32 s11, s11, s10
	s_waitcnt vmcnt(0)
	v_add_co_u32 v10, vcc_lo, v6, s12
	v_add_co_ci_u32_e32 v11, vcc_lo, s11, v7, vcc_lo
	s_and_saveexec_b32 s10, s0
	s_cbranch_execz .LBB1_232
; %bb.231:
	v_dual_mov_b32 v12, s1 :: v_dual_mov_b32 v13, v2
	v_dual_mov_b32 v14, 2 :: v_dual_mov_b32 v15, 1
	global_store_b128 v[10:11], v[12:15], off offset:8
.LBB1_232:
	s_or_b32 exec_lo, exec_lo, s10
	s_lshl_b64 s[6:7], s[6:7], 12
	s_mov_b32 s12, 0
	v_add_co_u32 v8, vcc_lo, v8, s6
	v_add_co_ci_u32_e32 v9, vcc_lo, s7, v9, vcc_lo
	s_mov_b32 s13, s12
	s_delay_alu instid0(VALU_DEP_2)
	v_readfirstlane_b32 s6, v8
	v_add_co_u32 v8, vcc_lo, v8, v34
	s_mov_b32 s14, s12
	s_mov_b32 s15, s12
	v_and_or_b32 v0, 0xffffff1f, v0, 32
	v_dual_mov_b32 v3, v2 :: v_dual_mov_b32 v12, s12
	v_readfirstlane_b32 s7, v9
	v_add_co_ci_u32_e32 v9, vcc_lo, 0, v9, vcc_lo
	v_dual_mov_b32 v13, s13 :: v_dual_mov_b32 v14, s14
	v_mov_b32_e32 v15, s15
	s_clause 0x3
	global_store_b128 v34, v[0:3], s[6:7]
	global_store_b128 v34, v[12:15], s[6:7] offset:16
	global_store_b128 v34, v[12:15], s[6:7] offset:32
	;; [unrolled: 1-line block ×3, first 2 shown]
	s_and_saveexec_b32 s1, s0
	s_cbranch_execz .LBB1_240
; %bb.233:
	v_dual_mov_b32 v12, 0 :: v_dual_mov_b32 v13, s4
	v_mov_b32_e32 v14, s5
	s_clause 0x1
	global_load_b64 v[15:16], v12, s[2:3] offset:32 glc
	global_load_b64 v[0:1], v12, s[2:3] offset:40
	s_waitcnt vmcnt(0)
	v_readfirstlane_b32 s6, v0
	v_readfirstlane_b32 s7, v1
	s_delay_alu instid0(VALU_DEP_1) | instskip(NEXT) | instid1(SALU_CYCLE_1)
	s_and_b64 s[6:7], s[6:7], s[4:5]
	s_mul_i32 s7, s7, 24
	s_mul_hi_u32 s10, s6, 24
	s_mul_i32 s6, s6, 24
	s_add_i32 s10, s10, s7
	v_add_co_u32 v6, vcc_lo, v6, s6
	v_add_co_ci_u32_e32 v7, vcc_lo, s10, v7, vcc_lo
	s_mov_b32 s6, exec_lo
	global_store_b64 v[6:7], v[15:16], off
	s_waitcnt_vscnt null, 0x0
	global_atomic_cmpswap_b64 v[2:3], v12, v[13:16], s[2:3] offset:32 glc
	s_waitcnt vmcnt(0)
	v_cmpx_ne_u64_e64 v[2:3], v[15:16]
	s_cbranch_execz .LBB1_236
; %bb.234:
	s_mov_b32 s7, 0
.LBB1_235:                              ; =>This Inner Loop Header: Depth=1
	v_dual_mov_b32 v0, s4 :: v_dual_mov_b32 v1, s5
	s_sleep 1
	global_store_b64 v[6:7], v[2:3], off
	s_waitcnt_vscnt null, 0x0
	global_atomic_cmpswap_b64 v[0:1], v12, v[0:3], s[2:3] offset:32 glc
	s_waitcnt vmcnt(0)
	v_cmp_eq_u64_e32 vcc_lo, v[0:1], v[2:3]
	v_dual_mov_b32 v3, v1 :: v_dual_mov_b32 v2, v0
	s_or_b32 s7, vcc_lo, s7
	s_delay_alu instid0(SALU_CYCLE_1)
	s_and_not1_b32 exec_lo, exec_lo, s7
	s_cbranch_execnz .LBB1_235
.LBB1_236:
	s_or_b32 exec_lo, exec_lo, s6
	v_mov_b32_e32 v3, 0
	s_mov_b32 s7, exec_lo
	s_mov_b32 s6, exec_lo
	v_mbcnt_lo_u32_b32 v2, s7, 0
	global_load_b64 v[0:1], v3, s[2:3] offset:16
	v_cmpx_eq_u32_e32 0, v2
	s_cbranch_execz .LBB1_238
; %bb.237:
	s_bcnt1_i32_b32 s7, s7
	s_delay_alu instid0(SALU_CYCLE_1)
	v_mov_b32_e32 v2, s7
	s_waitcnt vmcnt(0)
	global_atomic_add_u64 v[0:1], v[2:3], off offset:8
.LBB1_238:
	s_or_b32 exec_lo, exec_lo, s6
	s_waitcnt vmcnt(0)
	global_load_b64 v[2:3], v[0:1], off offset:16
	s_waitcnt vmcnt(0)
	v_cmp_eq_u64_e32 vcc_lo, 0, v[2:3]
	s_cbranch_vccnz .LBB1_240
; %bb.239:
	global_load_b32 v0, v[0:1], off offset:24
	s_waitcnt vmcnt(0)
	v_dual_mov_b32 v1, 0 :: v_dual_and_b32 v6, 0xffffff, v0
	s_waitcnt_vscnt null, 0x0
	global_store_b64 v[2:3], v[0:1], off
	v_readfirstlane_b32 m0, v6
	s_sendmsg sendmsg(MSG_INTERRUPT)
.LBB1_240:
	s_or_b32 exec_lo, exec_lo, s1
	s_branch .LBB1_244
	.p2align	6
.LBB1_241:                              ;   in Loop: Header=BB1_244 Depth=1
	s_or_b32 exec_lo, exec_lo, s1
	s_delay_alu instid0(VALU_DEP_1) | instskip(NEXT) | instid1(VALU_DEP_1)
	v_readfirstlane_b32 s1, v0
	s_cmp_eq_u32 s1, 0
	s_cbranch_scc1 .LBB1_243
; %bb.242:                              ;   in Loop: Header=BB1_244 Depth=1
	s_sleep 1
	s_cbranch_execnz .LBB1_244
	s_branch .LBB1_246
	.p2align	6
.LBB1_243:
	s_branch .LBB1_246
.LBB1_244:                              ; =>This Inner Loop Header: Depth=1
	v_mov_b32_e32 v0, 1
	s_and_saveexec_b32 s1, s0
	s_cbranch_execz .LBB1_241
; %bb.245:                              ;   in Loop: Header=BB1_244 Depth=1
	global_load_b32 v0, v[10:11], off offset:20 glc
	s_waitcnt vmcnt(0)
	buffer_gl1_inv
	buffer_gl0_inv
	v_and_b32_e32 v0, 1, v0
	s_branch .LBB1_241
.LBB1_246:
	global_load_b64 v[6:7], v[8:9], off
	s_and_saveexec_b32 s1, s0
	s_cbranch_execz .LBB1_250
; %bb.247:
	v_mov_b32_e32 v10, 0
	s_clause 0x2
	global_load_b64 v[2:3], v10, s[2:3] offset:40
	global_load_b64 v[11:12], v10, s[2:3] offset:24 glc
	global_load_b64 v[8:9], v10, s[2:3]
	s_waitcnt vmcnt(2)
	v_add_co_u32 v13, vcc_lo, v2, 1
	v_add_co_ci_u32_e32 v14, vcc_lo, 0, v3, vcc_lo
	s_delay_alu instid0(VALU_DEP_2) | instskip(NEXT) | instid1(VALU_DEP_2)
	v_add_co_u32 v0, vcc_lo, v13, s4
	v_add_co_ci_u32_e32 v1, vcc_lo, s5, v14, vcc_lo
	s_delay_alu instid0(VALU_DEP_1) | instskip(SKIP_1) | instid1(VALU_DEP_1)
	v_cmp_eq_u64_e32 vcc_lo, 0, v[0:1]
	v_dual_cndmask_b32 v1, v1, v14 :: v_dual_cndmask_b32 v0, v0, v13
	v_and_b32_e32 v3, v1, v3
	s_delay_alu instid0(VALU_DEP_2) | instskip(NEXT) | instid1(VALU_DEP_2)
	v_and_b32_e32 v2, v0, v2
	v_mul_lo_u32 v3, v3, 24
	s_delay_alu instid0(VALU_DEP_2) | instskip(SKIP_1) | instid1(VALU_DEP_2)
	v_mul_hi_u32 v13, v2, 24
	v_mul_lo_u32 v2, v2, 24
	v_add_nc_u32_e32 v3, v13, v3
	s_waitcnt vmcnt(0)
	s_delay_alu instid0(VALU_DEP_2) | instskip(SKIP_1) | instid1(VALU_DEP_3)
	v_add_co_u32 v8, vcc_lo, v8, v2
	v_mov_b32_e32 v2, v11
	v_add_co_ci_u32_e32 v9, vcc_lo, v9, v3, vcc_lo
	v_mov_b32_e32 v3, v12
	global_store_b64 v[8:9], v[11:12], off
	s_waitcnt_vscnt null, 0x0
	global_atomic_cmpswap_b64 v[2:3], v10, v[0:3], s[2:3] offset:24 glc
	s_waitcnt vmcnt(0)
	v_cmp_ne_u64_e32 vcc_lo, v[2:3], v[11:12]
	s_and_b32 exec_lo, exec_lo, vcc_lo
	s_cbranch_execz .LBB1_250
; %bb.248:
	s_mov_b32 s0, 0
.LBB1_249:                              ; =>This Inner Loop Header: Depth=1
	s_sleep 1
	global_store_b64 v[8:9], v[2:3], off
	s_waitcnt_vscnt null, 0x0
	global_atomic_cmpswap_b64 v[11:12], v10, v[0:3], s[2:3] offset:24 glc
	s_waitcnt vmcnt(0)
	v_cmp_eq_u64_e32 vcc_lo, v[11:12], v[2:3]
	v_dual_mov_b32 v2, v11 :: v_dual_mov_b32 v3, v12
	s_or_b32 s0, vcc_lo, s0
	s_delay_alu instid0(SALU_CYCLE_1)
	s_and_not1_b32 exec_lo, exec_lo, s0
	s_cbranch_execnz .LBB1_249
.LBB1_250:
	s_or_b32 exec_lo, exec_lo, s1
.LBB1_251:
	v_readfirstlane_b32 s0, v35
	v_mov_b32_e32 v10, 0
	v_mov_b32_e32 v11, 0
	s_delay_alu instid0(VALU_DEP_3) | instskip(NEXT) | instid1(VALU_DEP_1)
	v_cmp_eq_u32_e64 s0, s0, v35
	s_and_saveexec_b32 s1, s0
	s_cbranch_execz .LBB1_257
; %bb.252:
	v_mov_b32_e32 v0, 0
	s_mov_b32 s4, exec_lo
	global_load_b64 v[12:13], v0, s[2:3] offset:24 glc
	s_waitcnt vmcnt(0)
	buffer_gl1_inv
	buffer_gl0_inv
	s_clause 0x1
	global_load_b64 v[1:2], v0, s[2:3] offset:40
	global_load_b64 v[8:9], v0, s[2:3]
	s_waitcnt vmcnt(1)
	v_and_b32_e32 v1, v1, v12
	v_and_b32_e32 v2, v2, v13
	s_delay_alu instid0(VALU_DEP_2) | instskip(NEXT) | instid1(VALU_DEP_2)
	v_mul_hi_u32 v3, v1, 24
	v_mul_lo_u32 v2, v2, 24
	v_mul_lo_u32 v1, v1, 24
	s_delay_alu instid0(VALU_DEP_2) | instskip(SKIP_1) | instid1(VALU_DEP_2)
	v_add_nc_u32_e32 v2, v3, v2
	s_waitcnt vmcnt(0)
	v_add_co_u32 v1, vcc_lo, v8, v1
	s_delay_alu instid0(VALU_DEP_2)
	v_add_co_ci_u32_e32 v2, vcc_lo, v9, v2, vcc_lo
	global_load_b64 v[10:11], v[1:2], off glc
	s_waitcnt vmcnt(0)
	global_atomic_cmpswap_b64 v[10:11], v0, v[10:13], s[2:3] offset:24 glc
	s_waitcnt vmcnt(0)
	buffer_gl1_inv
	buffer_gl0_inv
	v_cmpx_ne_u64_e64 v[10:11], v[12:13]
	s_cbranch_execz .LBB1_256
; %bb.253:
	s_mov_b32 s5, 0
	.p2align	6
.LBB1_254:                              ; =>This Inner Loop Header: Depth=1
	s_sleep 1
	s_clause 0x1
	global_load_b64 v[1:2], v0, s[2:3] offset:40
	global_load_b64 v[8:9], v0, s[2:3]
	v_dual_mov_b32 v13, v11 :: v_dual_mov_b32 v12, v10
	s_waitcnt vmcnt(1)
	s_delay_alu instid0(VALU_DEP_1) | instskip(SKIP_1) | instid1(VALU_DEP_1)
	v_and_b32_e32 v1, v1, v12
	s_waitcnt vmcnt(0)
	v_mad_u64_u32 v[10:11], null, v1, 24, v[8:9]
	s_delay_alu instid0(VALU_DEP_1) | instskip(NEXT) | instid1(VALU_DEP_1)
	v_dual_mov_b32 v1, v11 :: v_dual_and_b32 v8, v2, v13
	v_mad_u64_u32 v[2:3], null, v8, 24, v[1:2]
	s_delay_alu instid0(VALU_DEP_1)
	v_mov_b32_e32 v11, v2
	global_load_b64 v[10:11], v[10:11], off glc
	s_waitcnt vmcnt(0)
	global_atomic_cmpswap_b64 v[10:11], v0, v[10:13], s[2:3] offset:24 glc
	s_waitcnt vmcnt(0)
	buffer_gl1_inv
	buffer_gl0_inv
	v_cmp_eq_u64_e32 vcc_lo, v[10:11], v[12:13]
	s_or_b32 s5, vcc_lo, s5
	s_delay_alu instid0(SALU_CYCLE_1)
	s_and_not1_b32 exec_lo, exec_lo, s5
	s_cbranch_execnz .LBB1_254
; %bb.255:
	s_or_b32 exec_lo, exec_lo, s5
.LBB1_256:
	s_delay_alu instid0(SALU_CYCLE_1)
	s_or_b32 exec_lo, exec_lo, s4
.LBB1_257:
	s_delay_alu instid0(SALU_CYCLE_1)
	s_or_b32 exec_lo, exec_lo, s1
	s_waitcnt vmcnt(0)
	v_mov_b32_e32 v9, 0
	v_readfirstlane_b32 s4, v10
	v_readfirstlane_b32 s5, v11
	s_mov_b32 s1, exec_lo
	s_clause 0x1
	global_load_b64 v[12:13], v9, s[2:3] offset:40
	global_load_b128 v[0:3], v9, s[2:3]
	s_waitcnt vmcnt(1)
	v_readfirstlane_b32 s6, v12
	v_readfirstlane_b32 s7, v13
	s_delay_alu instid0(VALU_DEP_1) | instskip(NEXT) | instid1(SALU_CYCLE_1)
	s_and_b64 s[6:7], s[4:5], s[6:7]
	s_mul_i32 s10, s7, 24
	s_mul_hi_u32 s11, s6, 24
	s_mul_i32 s12, s6, 24
	s_add_i32 s11, s11, s10
	s_waitcnt vmcnt(0)
	v_add_co_u32 v10, vcc_lo, v0, s12
	v_add_co_ci_u32_e32 v11, vcc_lo, s11, v1, vcc_lo
	s_and_saveexec_b32 s10, s0
	s_cbranch_execz .LBB1_259
; %bb.258:
	v_dual_mov_b32 v8, s1 :: v_dual_mov_b32 v15, 1
	v_dual_mov_b32 v14, 2 :: v_dual_mov_b32 v13, v9
	s_delay_alu instid0(VALU_DEP_2)
	v_mov_b32_e32 v12, v8
	global_store_b128 v[10:11], v[12:15], off offset:8
.LBB1_259:
	s_or_b32 exec_lo, exec_lo, s10
	s_lshl_b64 s[6:7], s[6:7], 12
	s_mov_b32 s12, 0
	v_add_co_u32 v2, vcc_lo, v2, s6
	v_add_co_ci_u32_e32 v3, vcc_lo, s7, v3, vcc_lo
	s_mov_b32 s15, s12
	s_delay_alu instid0(VALU_DEP_2)
	v_add_co_u32 v12, vcc_lo, v2, v34
	s_mov_b32 s13, s12
	s_mov_b32 s14, s12
	v_and_or_b32 v6, 0xffffff1f, v6, 32
	v_dual_mov_b32 v8, 0x7d :: v_dual_mov_b32 v17, s15
	v_readfirstlane_b32 s6, v2
	v_readfirstlane_b32 s7, v3
	v_add_co_ci_u32_e32 v13, vcc_lo, 0, v3, vcc_lo
	v_dual_mov_b32 v16, s14 :: v_dual_mov_b32 v15, s13
	v_mov_b32_e32 v14, s12
	s_clause 0x3
	global_store_b128 v34, v[6:9], s[6:7]
	global_store_b128 v34, v[14:17], s[6:7] offset:16
	global_store_b128 v34, v[14:17], s[6:7] offset:32
	;; [unrolled: 1-line block ×3, first 2 shown]
	s_and_saveexec_b32 s1, s0
	s_cbranch_execz .LBB1_267
; %bb.260:
	v_dual_mov_b32 v8, 0 :: v_dual_mov_b32 v15, s5
	v_mov_b32_e32 v14, s4
	s_clause 0x1
	global_load_b64 v[16:17], v8, s[2:3] offset:32 glc
	global_load_b64 v[2:3], v8, s[2:3] offset:40
	s_waitcnt vmcnt(0)
	v_readfirstlane_b32 s6, v2
	v_readfirstlane_b32 s7, v3
	s_delay_alu instid0(VALU_DEP_1) | instskip(NEXT) | instid1(SALU_CYCLE_1)
	s_and_b64 s[6:7], s[6:7], s[4:5]
	s_mul_i32 s7, s7, 24
	s_mul_hi_u32 s10, s6, 24
	s_mul_i32 s6, s6, 24
	s_add_i32 s10, s10, s7
	v_add_co_u32 v6, vcc_lo, v0, s6
	v_add_co_ci_u32_e32 v7, vcc_lo, s10, v1, vcc_lo
	s_mov_b32 s6, exec_lo
	global_store_b64 v[6:7], v[16:17], off
	s_waitcnt_vscnt null, 0x0
	global_atomic_cmpswap_b64 v[2:3], v8, v[14:17], s[2:3] offset:32 glc
	s_waitcnt vmcnt(0)
	v_cmpx_ne_u64_e64 v[2:3], v[16:17]
	s_cbranch_execz .LBB1_263
; %bb.261:
	s_mov_b32 s7, 0
.LBB1_262:                              ; =>This Inner Loop Header: Depth=1
	v_dual_mov_b32 v0, s4 :: v_dual_mov_b32 v1, s5
	s_sleep 1
	global_store_b64 v[6:7], v[2:3], off
	s_waitcnt_vscnt null, 0x0
	global_atomic_cmpswap_b64 v[0:1], v8, v[0:3], s[2:3] offset:32 glc
	s_waitcnt vmcnt(0)
	v_cmp_eq_u64_e32 vcc_lo, v[0:1], v[2:3]
	v_dual_mov_b32 v3, v1 :: v_dual_mov_b32 v2, v0
	s_or_b32 s7, vcc_lo, s7
	s_delay_alu instid0(SALU_CYCLE_1)
	s_and_not1_b32 exec_lo, exec_lo, s7
	s_cbranch_execnz .LBB1_262
.LBB1_263:
	s_or_b32 exec_lo, exec_lo, s6
	v_mov_b32_e32 v3, 0
	s_mov_b32 s7, exec_lo
	s_mov_b32 s6, exec_lo
	v_mbcnt_lo_u32_b32 v2, s7, 0
	global_load_b64 v[0:1], v3, s[2:3] offset:16
	v_cmpx_eq_u32_e32 0, v2
	s_cbranch_execz .LBB1_265
; %bb.264:
	s_bcnt1_i32_b32 s7, s7
	s_delay_alu instid0(SALU_CYCLE_1)
	v_mov_b32_e32 v2, s7
	s_waitcnt vmcnt(0)
	global_atomic_add_u64 v[0:1], v[2:3], off offset:8
.LBB1_265:
	s_or_b32 exec_lo, exec_lo, s6
	s_waitcnt vmcnt(0)
	global_load_b64 v[2:3], v[0:1], off offset:16
	s_waitcnt vmcnt(0)
	v_cmp_eq_u64_e32 vcc_lo, 0, v[2:3]
	s_cbranch_vccnz .LBB1_267
; %bb.266:
	global_load_b32 v0, v[0:1], off offset:24
	s_waitcnt vmcnt(0)
	v_dual_mov_b32 v1, 0 :: v_dual_and_b32 v6, 0xffffff, v0
	s_waitcnt_vscnt null, 0x0
	global_store_b64 v[2:3], v[0:1], off
	v_readfirstlane_b32 m0, v6
	s_sendmsg sendmsg(MSG_INTERRUPT)
.LBB1_267:
	s_or_b32 exec_lo, exec_lo, s1
	s_branch .LBB1_271
	.p2align	6
.LBB1_268:                              ;   in Loop: Header=BB1_271 Depth=1
	s_or_b32 exec_lo, exec_lo, s1
	s_delay_alu instid0(VALU_DEP_1) | instskip(NEXT) | instid1(VALU_DEP_1)
	v_readfirstlane_b32 s1, v0
	s_cmp_eq_u32 s1, 0
	s_cbranch_scc1 .LBB1_270
; %bb.269:                              ;   in Loop: Header=BB1_271 Depth=1
	s_sleep 1
	s_cbranch_execnz .LBB1_271
	s_branch .LBB1_273
	.p2align	6
.LBB1_270:
	s_branch .LBB1_273
.LBB1_271:                              ; =>This Inner Loop Header: Depth=1
	v_mov_b32_e32 v0, 1
	s_and_saveexec_b32 s1, s0
	s_cbranch_execz .LBB1_268
; %bb.272:                              ;   in Loop: Header=BB1_271 Depth=1
	global_load_b32 v0, v[10:11], off offset:20 glc
	s_waitcnt vmcnt(0)
	buffer_gl1_inv
	buffer_gl0_inv
	v_and_b32_e32 v0, 1, v0
	s_branch .LBB1_268
.LBB1_273:
	global_load_b64 v[0:1], v[12:13], off
	s_and_saveexec_b32 s1, s0
	s_cbranch_execz .LBB1_277
; %bb.274:
	v_mov_b32_e32 v10, 0
	s_clause 0x2
	global_load_b64 v[2:3], v10, s[2:3] offset:40
	global_load_b64 v[11:12], v10, s[2:3] offset:24 glc
	global_load_b64 v[8:9], v10, s[2:3]
	s_waitcnt vmcnt(2)
	v_add_co_u32 v13, vcc_lo, v2, 1
	v_add_co_ci_u32_e32 v14, vcc_lo, 0, v3, vcc_lo
	s_delay_alu instid0(VALU_DEP_2) | instskip(NEXT) | instid1(VALU_DEP_2)
	v_add_co_u32 v6, vcc_lo, v13, s4
	v_add_co_ci_u32_e32 v7, vcc_lo, s5, v14, vcc_lo
	s_delay_alu instid0(VALU_DEP_1) | instskip(SKIP_1) | instid1(VALU_DEP_1)
	v_cmp_eq_u64_e32 vcc_lo, 0, v[6:7]
	v_dual_cndmask_b32 v7, v7, v14 :: v_dual_cndmask_b32 v6, v6, v13
	v_and_b32_e32 v3, v7, v3
	s_delay_alu instid0(VALU_DEP_2) | instskip(NEXT) | instid1(VALU_DEP_2)
	v_and_b32_e32 v2, v6, v2
	v_mul_lo_u32 v3, v3, 24
	s_delay_alu instid0(VALU_DEP_2) | instskip(SKIP_1) | instid1(VALU_DEP_2)
	v_mul_hi_u32 v13, v2, 24
	v_mul_lo_u32 v2, v2, 24
	v_add_nc_u32_e32 v3, v13, v3
	s_waitcnt vmcnt(0)
	s_delay_alu instid0(VALU_DEP_2) | instskip(SKIP_1) | instid1(VALU_DEP_3)
	v_add_co_u32 v2, vcc_lo, v8, v2
	v_mov_b32_e32 v8, v11
	v_add_co_ci_u32_e32 v3, vcc_lo, v9, v3, vcc_lo
	v_mov_b32_e32 v9, v12
	global_store_b64 v[2:3], v[11:12], off
	s_waitcnt_vscnt null, 0x0
	global_atomic_cmpswap_b64 v[8:9], v10, v[6:9], s[2:3] offset:24 glc
	s_waitcnt vmcnt(0)
	v_cmp_ne_u64_e32 vcc_lo, v[8:9], v[11:12]
	s_and_b32 exec_lo, exec_lo, vcc_lo
	s_cbranch_execz .LBB1_277
; %bb.275:
	s_mov_b32 s0, 0
.LBB1_276:                              ; =>This Inner Loop Header: Depth=1
	s_sleep 1
	global_store_b64 v[2:3], v[8:9], off
	s_waitcnt_vscnt null, 0x0
	global_atomic_cmpswap_b64 v[11:12], v10, v[6:9], s[2:3] offset:24 glc
	s_waitcnt vmcnt(0)
	v_cmp_eq_u64_e32 vcc_lo, v[11:12], v[8:9]
	v_dual_mov_b32 v8, v11 :: v_dual_mov_b32 v9, v12
	s_or_b32 s0, vcc_lo, s0
	s_delay_alu instid0(SALU_CYCLE_1)
	s_and_not1_b32 exec_lo, exec_lo, s0
	s_cbranch_execnz .LBB1_276
.LBB1_277:
	s_or_b32 exec_lo, exec_lo, s1
	v_dual_mov_b32 v7, v5 :: v_dual_mov_b32 v6, v4
	s_mov_b32 s0, 0
.LBB1_278:                              ; =>This Inner Loop Header: Depth=1
	flat_load_u8 v8, v[6:7]
	v_add_co_u32 v2, vcc_lo, v6, 1
	v_add_co_ci_u32_e32 v3, vcc_lo, 0, v7, vcc_lo
	s_delay_alu instid0(VALU_DEP_1) | instskip(SKIP_3) | instid1(SALU_CYCLE_1)
	v_dual_mov_b32 v7, v3 :: v_dual_mov_b32 v6, v2
	s_waitcnt vmcnt(0) lgkmcnt(0)
	v_cmp_eq_u16_e32 vcc_lo, 0, v8
	s_or_b32 s0, vcc_lo, s0
	s_and_not1_b32 exec_lo, exec_lo, s0
	s_cbranch_execnz .LBB1_278
; %bb.279:
	s_or_b32 exec_lo, exec_lo, s0
	s_delay_alu instid0(SALU_CYCLE_1)
	s_mov_b32 s0, exec_lo
	v_cmpx_ne_u64_e32 0, v[4:5]
	s_xor_b32 s10, exec_lo, s0
	s_cbranch_execz .LBB1_365
; %bb.280:
	v_sub_nc_u32_e32 v26, v2, v4
	v_dual_mov_b32 v7, 0 :: v_dual_and_b32 v32, 2, v0
	v_dual_mov_b32 v9, 1 :: v_dual_and_b32 v0, -3, v0
	v_mov_b32_e32 v8, 2
	s_delay_alu instid0(VALU_DEP_4)
	v_ashrrev_i32_e32 v27, 31, v26
	s_mov_b32 s12, 0
	s_mov_b32 s11, 0
	s_branch .LBB1_282
.LBB1_281:                              ;   in Loop: Header=BB1_282 Depth=1
	s_or_b32 exec_lo, exec_lo, s1
	v_sub_co_u32 v26, vcc_lo, v26, v28
	v_sub_co_ci_u32_e32 v27, vcc_lo, v27, v29, vcc_lo
	v_add_co_u32 v4, s0, v4, v28
	s_delay_alu instid0(VALU_DEP_1) | instskip(NEXT) | instid1(VALU_DEP_3)
	v_add_co_ci_u32_e64 v5, s0, v5, v29, s0
	v_cmp_eq_u64_e32 vcc_lo, 0, v[26:27]
	s_or_b32 s11, vcc_lo, s11
	s_delay_alu instid0(SALU_CYCLE_1)
	s_and_not1_b32 exec_lo, exec_lo, s11
	s_cbranch_execz .LBB1_364
.LBB1_282:                              ; =>This Loop Header: Depth=1
                                        ;     Child Loop BB1_285 Depth 2
                                        ;     Child Loop BB1_293 Depth 2
                                        ;     Child Loop BB1_301 Depth 2
                                        ;     Child Loop BB1_309 Depth 2
                                        ;     Child Loop BB1_317 Depth 2
                                        ;     Child Loop BB1_325 Depth 2
                                        ;     Child Loop BB1_333 Depth 2
                                        ;     Child Loop BB1_341 Depth 2
                                        ;     Child Loop BB1_349 Depth 2
                                        ;     Child Loop BB1_358 Depth 2
                                        ;     Child Loop BB1_363 Depth 2
	s_delay_alu instid0(VALU_DEP_1)
	v_cmp_gt_u64_e32 vcc_lo, 56, v[26:27]
	s_mov_b32 s1, exec_lo
                                        ; implicit-def: $vgpr2_vgpr3
                                        ; implicit-def: $sgpr4
	v_dual_cndmask_b32 v29, 0, v27 :: v_dual_cndmask_b32 v28, 56, v26
	v_cmpx_gt_u64_e32 8, v[26:27]
	s_xor_b32 s1, exec_lo, s1
	s_cbranch_execz .LBB1_288
; %bb.283:                              ;   in Loop: Header=BB1_282 Depth=1
	s_waitcnt vmcnt(0)
	v_mov_b32_e32 v2, 0
	v_mov_b32_e32 v3, 0
	s_mov_b64 s[4:5], 0
	s_mov_b32 s6, exec_lo
	v_cmpx_ne_u64_e32 0, v[26:27]
	s_cbranch_execz .LBB1_287
; %bb.284:                              ;   in Loop: Header=BB1_282 Depth=1
	v_lshlrev_b64 v[10:11], 3, v[28:29]
	v_mov_b32_e32 v2, 0
	v_dual_mov_b32 v3, 0 :: v_dual_mov_b32 v12, v5
	v_mov_b32_e32 v11, v4
	s_mov_b32 s7, 0
	.p2align	6
.LBB1_285:                              ;   Parent Loop BB1_282 Depth=1
                                        ; =>  This Inner Loop Header: Depth=2
	flat_load_u8 v6, v[11:12]
	v_mov_b32_e32 v14, s12
	v_add_co_u32 v11, vcc_lo, v11, 1
	v_add_co_ci_u32_e32 v12, vcc_lo, 0, v12, vcc_lo
	s_waitcnt vmcnt(0) lgkmcnt(0)
	v_and_b32_e32 v13, 0xffff, v6
	s_delay_alu instid0(VALU_DEP_1) | instskip(SKIP_3) | instid1(VALU_DEP_2)
	v_lshlrev_b64 v[13:14], s4, v[13:14]
	s_add_u32 s4, s4, 8
	s_addc_u32 s5, s5, 0
	v_cmp_eq_u32_e64 s0, s4, v10
	v_or_b32_e32 v3, v14, v3
	s_delay_alu instid0(VALU_DEP_3) | instskip(NEXT) | instid1(VALU_DEP_3)
	v_or_b32_e32 v2, v13, v2
	s_or_b32 s7, s0, s7
	s_delay_alu instid0(SALU_CYCLE_1)
	s_and_not1_b32 exec_lo, exec_lo, s7
	s_cbranch_execnz .LBB1_285
; %bb.286:                              ;   in Loop: Header=BB1_282 Depth=1
	s_or_b32 exec_lo, exec_lo, s7
.LBB1_287:                              ;   in Loop: Header=BB1_282 Depth=1
	s_delay_alu instid0(SALU_CYCLE_1)
	s_or_b32 exec_lo, exec_lo, s6
	s_mov_b32 s4, 0
.LBB1_288:                              ;   in Loop: Header=BB1_282 Depth=1
	s_or_saveexec_b32 s0, s1
	v_dual_mov_b32 v6, s4 :: v_dual_mov_b32 v23, v5
	v_mov_b32_e32 v22, v4
	s_xor_b32 exec_lo, exec_lo, s0
	s_cbranch_execz .LBB1_290
; %bb.289:                              ;   in Loop: Header=BB1_282 Depth=1
	s_waitcnt vmcnt(0)
	flat_load_b64 v[2:3], v[4:5]
	v_add_co_u32 v22, vcc_lo, v4, 8
	v_add_co_ci_u32_e32 v23, vcc_lo, 0, v5, vcc_lo
	s_waitcnt vmcnt(0) lgkmcnt(0)
	v_and_b32_e32 v6, 0xff, v3
	v_and_b32_e32 v10, 0xff00, v3
	;; [unrolled: 1-line block ×4, first 2 shown]
	v_or3_b32 v2, v2, 0, 0
	s_delay_alu instid0(VALU_DEP_4) | instskip(SKIP_1) | instid1(VALU_DEP_2)
	v_or_b32_e32 v10, v6, v10
	v_add_nc_u32_e32 v6, -8, v28
	v_or3_b32 v3, v10, v11, v3
.LBB1_290:                              ;   in Loop: Header=BB1_282 Depth=1
	s_or_b32 exec_lo, exec_lo, s0
                                        ; implicit-def: $vgpr10_vgpr11
                                        ; implicit-def: $sgpr1
	s_delay_alu instid0(SALU_CYCLE_1) | instskip(NEXT) | instid1(VALU_DEP_2)
	s_mov_b32 s0, exec_lo
	v_cmpx_gt_u32_e32 8, v6
	s_xor_b32 s6, exec_lo, s0
	s_cbranch_execz .LBB1_296
; %bb.291:                              ;   in Loop: Header=BB1_282 Depth=1
	v_mov_b32_e32 v10, 0
	v_mov_b32_e32 v11, 0
	s_mov_b32 s7, exec_lo
	v_cmpx_ne_u32_e32 0, v6
	s_cbranch_execz .LBB1_295
; %bb.292:                              ;   in Loop: Header=BB1_282 Depth=1
	v_mov_b32_e32 v10, 0
	v_mov_b32_e32 v11, 0
	s_mov_b64 s[0:1], 0
	s_mov_b32 s13, 0
	s_mov_b64 s[4:5], 0
	.p2align	6
.LBB1_293:                              ;   Parent Loop BB1_282 Depth=1
                                        ; =>  This Inner Loop Header: Depth=2
	s_delay_alu instid0(SALU_CYCLE_1)
	v_add_co_u32 v12, vcc_lo, v22, s4
	v_add_co_ci_u32_e32 v13, vcc_lo, s5, v23, vcc_lo
	s_add_u32 s4, s4, 1
	s_addc_u32 s5, s5, 0
	v_cmp_eq_u32_e32 vcc_lo, s4, v6
	flat_load_u8 v12, v[12:13]
	s_waitcnt vmcnt(0) lgkmcnt(0)
	v_dual_mov_b32 v13, s12 :: v_dual_and_b32 v12, 0xffff, v12
	s_delay_alu instid0(VALU_DEP_1) | instskip(SKIP_3) | instid1(VALU_DEP_1)
	v_lshlrev_b64 v[12:13], s0, v[12:13]
	s_add_u32 s0, s0, 8
	s_addc_u32 s1, s1, 0
	s_or_b32 s13, vcc_lo, s13
	v_or_b32_e32 v11, v13, v11
	s_delay_alu instid0(VALU_DEP_2)
	v_or_b32_e32 v10, v12, v10
	s_and_not1_b32 exec_lo, exec_lo, s13
	s_cbranch_execnz .LBB1_293
; %bb.294:                              ;   in Loop: Header=BB1_282 Depth=1
	s_or_b32 exec_lo, exec_lo, s13
.LBB1_295:                              ;   in Loop: Header=BB1_282 Depth=1
	s_delay_alu instid0(SALU_CYCLE_1)
	s_or_b32 exec_lo, exec_lo, s7
	s_mov_b32 s1, 0
                                        ; implicit-def: $vgpr6
.LBB1_296:                              ;   in Loop: Header=BB1_282 Depth=1
	s_or_saveexec_b32 s0, s6
	v_mov_b32_e32 v14, s1
	s_xor_b32 exec_lo, exec_lo, s0
	s_cbranch_execz .LBB1_298
; %bb.297:                              ;   in Loop: Header=BB1_282 Depth=1
	flat_load_b64 v[10:11], v[22:23]
	v_add_co_u32 v22, vcc_lo, v22, 8
	v_add_nc_u32_e32 v14, -8, v6
	v_add_co_ci_u32_e32 v23, vcc_lo, 0, v23, vcc_lo
	s_waitcnt vmcnt(0) lgkmcnt(0)
	v_and_b32_e32 v12, 0xff, v11
	v_and_b32_e32 v13, 0xff00, v11
	;; [unrolled: 1-line block ×4, first 2 shown]
	v_or3_b32 v10, v10, 0, 0
	s_delay_alu instid0(VALU_DEP_4) | instskip(NEXT) | instid1(VALU_DEP_1)
	v_or_b32_e32 v12, v12, v13
	v_or3_b32 v11, v12, v15, v11
.LBB1_298:                              ;   in Loop: Header=BB1_282 Depth=1
	s_or_b32 exec_lo, exec_lo, s0
                                        ; implicit-def: $sgpr1
	s_delay_alu instid0(SALU_CYCLE_1)
	s_mov_b32 s0, exec_lo
	v_cmpx_gt_u32_e32 8, v14
	s_xor_b32 s6, exec_lo, s0
	s_cbranch_execz .LBB1_304
; %bb.299:                              ;   in Loop: Header=BB1_282 Depth=1
	v_mov_b32_e32 v12, 0
	v_mov_b32_e32 v13, 0
	s_mov_b32 s7, exec_lo
	v_cmpx_ne_u32_e32 0, v14
	s_cbranch_execz .LBB1_303
; %bb.300:                              ;   in Loop: Header=BB1_282 Depth=1
	v_mov_b32_e32 v12, 0
	v_mov_b32_e32 v13, 0
	s_mov_b64 s[0:1], 0
	s_mov_b32 s13, 0
	s_mov_b64 s[4:5], 0
	.p2align	6
.LBB1_301:                              ;   Parent Loop BB1_282 Depth=1
                                        ; =>  This Inner Loop Header: Depth=2
	s_delay_alu instid0(SALU_CYCLE_1)
	v_add_co_u32 v15, vcc_lo, v22, s4
	v_add_co_ci_u32_e32 v16, vcc_lo, s5, v23, vcc_lo
	s_add_u32 s4, s4, 1
	s_addc_u32 s5, s5, 0
	v_cmp_eq_u32_e32 vcc_lo, s4, v14
	flat_load_u8 v6, v[15:16]
	s_waitcnt vmcnt(0) lgkmcnt(0)
	v_dual_mov_b32 v16, s12 :: v_dual_and_b32 v15, 0xffff, v6
	s_delay_alu instid0(VALU_DEP_1) | instskip(SKIP_3) | instid1(VALU_DEP_1)
	v_lshlrev_b64 v[15:16], s0, v[15:16]
	s_add_u32 s0, s0, 8
	s_addc_u32 s1, s1, 0
	s_or_b32 s13, vcc_lo, s13
	v_or_b32_e32 v13, v16, v13
	s_delay_alu instid0(VALU_DEP_2)
	v_or_b32_e32 v12, v15, v12
	s_and_not1_b32 exec_lo, exec_lo, s13
	s_cbranch_execnz .LBB1_301
; %bb.302:                              ;   in Loop: Header=BB1_282 Depth=1
	s_or_b32 exec_lo, exec_lo, s13
.LBB1_303:                              ;   in Loop: Header=BB1_282 Depth=1
	s_delay_alu instid0(SALU_CYCLE_1)
	s_or_b32 exec_lo, exec_lo, s7
	s_mov_b32 s1, 0
                                        ; implicit-def: $vgpr14
.LBB1_304:                              ;   in Loop: Header=BB1_282 Depth=1
	s_or_saveexec_b32 s0, s6
	v_mov_b32_e32 v6, s1
	s_xor_b32 exec_lo, exec_lo, s0
	s_cbranch_execz .LBB1_306
; %bb.305:                              ;   in Loop: Header=BB1_282 Depth=1
	flat_load_b64 v[12:13], v[22:23]
	v_add_co_u32 v22, vcc_lo, v22, 8
	v_add_co_ci_u32_e32 v23, vcc_lo, 0, v23, vcc_lo
	s_waitcnt vmcnt(0) lgkmcnt(0)
	v_and_b32_e32 v6, 0xff, v13
	v_and_b32_e32 v15, 0xff00, v13
	v_and_b32_e32 v16, 0xff0000, v13
	v_and_b32_e32 v13, 0xff000000, v13
	v_or3_b32 v12, v12, 0, 0
	s_delay_alu instid0(VALU_DEP_4) | instskip(SKIP_1) | instid1(VALU_DEP_2)
	v_or_b32_e32 v15, v6, v15
	v_add_nc_u32_e32 v6, -8, v14
	v_or3_b32 v13, v15, v16, v13
.LBB1_306:                              ;   in Loop: Header=BB1_282 Depth=1
	s_or_b32 exec_lo, exec_lo, s0
                                        ; implicit-def: $vgpr14_vgpr15
                                        ; implicit-def: $sgpr1
	s_delay_alu instid0(SALU_CYCLE_1) | instskip(NEXT) | instid1(VALU_DEP_1)
	s_mov_b32 s0, exec_lo
	v_cmpx_gt_u32_e32 8, v6
	s_xor_b32 s6, exec_lo, s0
	s_cbranch_execz .LBB1_312
; %bb.307:                              ;   in Loop: Header=BB1_282 Depth=1
	v_mov_b32_e32 v14, 0
	v_mov_b32_e32 v15, 0
	s_mov_b32 s7, exec_lo
	v_cmpx_ne_u32_e32 0, v6
	s_cbranch_execz .LBB1_311
; %bb.308:                              ;   in Loop: Header=BB1_282 Depth=1
	v_mov_b32_e32 v14, 0
	v_mov_b32_e32 v15, 0
	s_mov_b64 s[0:1], 0
	s_mov_b32 s13, 0
	s_mov_b64 s[4:5], 0
	.p2align	6
.LBB1_309:                              ;   Parent Loop BB1_282 Depth=1
                                        ; =>  This Inner Loop Header: Depth=2
	s_delay_alu instid0(SALU_CYCLE_1)
	v_add_co_u32 v16, vcc_lo, v22, s4
	v_add_co_ci_u32_e32 v17, vcc_lo, s5, v23, vcc_lo
	s_add_u32 s4, s4, 1
	s_addc_u32 s5, s5, 0
	v_cmp_eq_u32_e32 vcc_lo, s4, v6
	flat_load_u8 v16, v[16:17]
	s_waitcnt vmcnt(0) lgkmcnt(0)
	v_dual_mov_b32 v17, s12 :: v_dual_and_b32 v16, 0xffff, v16
	s_delay_alu instid0(VALU_DEP_1) | instskip(SKIP_3) | instid1(VALU_DEP_1)
	v_lshlrev_b64 v[16:17], s0, v[16:17]
	s_add_u32 s0, s0, 8
	s_addc_u32 s1, s1, 0
	s_or_b32 s13, vcc_lo, s13
	v_or_b32_e32 v15, v17, v15
	s_delay_alu instid0(VALU_DEP_2)
	v_or_b32_e32 v14, v16, v14
	s_and_not1_b32 exec_lo, exec_lo, s13
	s_cbranch_execnz .LBB1_309
; %bb.310:                              ;   in Loop: Header=BB1_282 Depth=1
	s_or_b32 exec_lo, exec_lo, s13
.LBB1_311:                              ;   in Loop: Header=BB1_282 Depth=1
	s_delay_alu instid0(SALU_CYCLE_1)
	s_or_b32 exec_lo, exec_lo, s7
	s_mov_b32 s1, 0
                                        ; implicit-def: $vgpr6
.LBB1_312:                              ;   in Loop: Header=BB1_282 Depth=1
	s_or_saveexec_b32 s0, s6
	v_mov_b32_e32 v18, s1
	s_xor_b32 exec_lo, exec_lo, s0
	s_cbranch_execz .LBB1_314
; %bb.313:                              ;   in Loop: Header=BB1_282 Depth=1
	flat_load_b64 v[14:15], v[22:23]
	v_add_co_u32 v22, vcc_lo, v22, 8
	v_add_nc_u32_e32 v18, -8, v6
	v_add_co_ci_u32_e32 v23, vcc_lo, 0, v23, vcc_lo
	s_waitcnt vmcnt(0) lgkmcnt(0)
	v_and_b32_e32 v16, 0xff, v15
	v_and_b32_e32 v17, 0xff00, v15
	;; [unrolled: 1-line block ×4, first 2 shown]
	v_or3_b32 v14, v14, 0, 0
	s_delay_alu instid0(VALU_DEP_4) | instskip(NEXT) | instid1(VALU_DEP_1)
	v_or_b32_e32 v16, v16, v17
	v_or3_b32 v15, v16, v19, v15
.LBB1_314:                              ;   in Loop: Header=BB1_282 Depth=1
	s_or_b32 exec_lo, exec_lo, s0
                                        ; implicit-def: $sgpr1
	s_delay_alu instid0(SALU_CYCLE_1)
	s_mov_b32 s0, exec_lo
	v_cmpx_gt_u32_e32 8, v18
	s_xor_b32 s6, exec_lo, s0
	s_cbranch_execz .LBB1_320
; %bb.315:                              ;   in Loop: Header=BB1_282 Depth=1
	v_mov_b32_e32 v16, 0
	v_mov_b32_e32 v17, 0
	s_mov_b32 s7, exec_lo
	v_cmpx_ne_u32_e32 0, v18
	s_cbranch_execz .LBB1_319
; %bb.316:                              ;   in Loop: Header=BB1_282 Depth=1
	v_mov_b32_e32 v16, 0
	v_mov_b32_e32 v17, 0
	s_mov_b64 s[0:1], 0
	s_mov_b32 s13, 0
	s_mov_b64 s[4:5], 0
	.p2align	6
.LBB1_317:                              ;   Parent Loop BB1_282 Depth=1
                                        ; =>  This Inner Loop Header: Depth=2
	s_delay_alu instid0(SALU_CYCLE_1)
	v_add_co_u32 v19, vcc_lo, v22, s4
	v_add_co_ci_u32_e32 v20, vcc_lo, s5, v23, vcc_lo
	s_add_u32 s4, s4, 1
	s_addc_u32 s5, s5, 0
	v_cmp_eq_u32_e32 vcc_lo, s4, v18
	flat_load_u8 v6, v[19:20]
	s_waitcnt vmcnt(0) lgkmcnt(0)
	v_dual_mov_b32 v20, s12 :: v_dual_and_b32 v19, 0xffff, v6
	s_delay_alu instid0(VALU_DEP_1) | instskip(SKIP_3) | instid1(VALU_DEP_1)
	v_lshlrev_b64 v[19:20], s0, v[19:20]
	s_add_u32 s0, s0, 8
	s_addc_u32 s1, s1, 0
	s_or_b32 s13, vcc_lo, s13
	v_or_b32_e32 v17, v20, v17
	s_delay_alu instid0(VALU_DEP_2)
	v_or_b32_e32 v16, v19, v16
	s_and_not1_b32 exec_lo, exec_lo, s13
	s_cbranch_execnz .LBB1_317
; %bb.318:                              ;   in Loop: Header=BB1_282 Depth=1
	s_or_b32 exec_lo, exec_lo, s13
.LBB1_319:                              ;   in Loop: Header=BB1_282 Depth=1
	s_delay_alu instid0(SALU_CYCLE_1)
	s_or_b32 exec_lo, exec_lo, s7
	s_mov_b32 s1, 0
                                        ; implicit-def: $vgpr18
.LBB1_320:                              ;   in Loop: Header=BB1_282 Depth=1
	s_or_saveexec_b32 s0, s6
	v_mov_b32_e32 v6, s1
	s_xor_b32 exec_lo, exec_lo, s0
	s_cbranch_execz .LBB1_322
; %bb.321:                              ;   in Loop: Header=BB1_282 Depth=1
	flat_load_b64 v[16:17], v[22:23]
	v_add_co_u32 v22, vcc_lo, v22, 8
	v_add_co_ci_u32_e32 v23, vcc_lo, 0, v23, vcc_lo
	s_waitcnt vmcnt(0) lgkmcnt(0)
	v_and_b32_e32 v6, 0xff, v17
	v_and_b32_e32 v19, 0xff00, v17
	;; [unrolled: 1-line block ×4, first 2 shown]
	v_or3_b32 v16, v16, 0, 0
	s_delay_alu instid0(VALU_DEP_4) | instskip(SKIP_1) | instid1(VALU_DEP_2)
	v_or_b32_e32 v19, v6, v19
	v_add_nc_u32_e32 v6, -8, v18
	v_or3_b32 v17, v19, v20, v17
.LBB1_322:                              ;   in Loop: Header=BB1_282 Depth=1
	s_or_b32 exec_lo, exec_lo, s0
                                        ; implicit-def: $vgpr18_vgpr19
                                        ; implicit-def: $sgpr1
	s_delay_alu instid0(SALU_CYCLE_1) | instskip(NEXT) | instid1(VALU_DEP_1)
	s_mov_b32 s0, exec_lo
	v_cmpx_gt_u32_e32 8, v6
	s_xor_b32 s6, exec_lo, s0
	s_cbranch_execz .LBB1_328
; %bb.323:                              ;   in Loop: Header=BB1_282 Depth=1
	v_mov_b32_e32 v18, 0
	v_mov_b32_e32 v19, 0
	s_mov_b32 s7, exec_lo
	v_cmpx_ne_u32_e32 0, v6
	s_cbranch_execz .LBB1_327
; %bb.324:                              ;   in Loop: Header=BB1_282 Depth=1
	v_mov_b32_e32 v18, 0
	v_mov_b32_e32 v19, 0
	s_mov_b64 s[0:1], 0
	s_mov_b32 s13, 0
	s_mov_b64 s[4:5], 0
	.p2align	6
.LBB1_325:                              ;   Parent Loop BB1_282 Depth=1
                                        ; =>  This Inner Loop Header: Depth=2
	s_delay_alu instid0(SALU_CYCLE_1)
	v_add_co_u32 v20, vcc_lo, v22, s4
	v_add_co_ci_u32_e32 v21, vcc_lo, s5, v23, vcc_lo
	s_add_u32 s4, s4, 1
	s_addc_u32 s5, s5, 0
	v_cmp_eq_u32_e32 vcc_lo, s4, v6
	flat_load_u8 v20, v[20:21]
	s_waitcnt vmcnt(0) lgkmcnt(0)
	v_dual_mov_b32 v21, s12 :: v_dual_and_b32 v20, 0xffff, v20
	s_delay_alu instid0(VALU_DEP_1) | instskip(SKIP_3) | instid1(VALU_DEP_1)
	v_lshlrev_b64 v[20:21], s0, v[20:21]
	s_add_u32 s0, s0, 8
	s_addc_u32 s1, s1, 0
	s_or_b32 s13, vcc_lo, s13
	v_or_b32_e32 v19, v21, v19
	s_delay_alu instid0(VALU_DEP_2)
	v_or_b32_e32 v18, v20, v18
	s_and_not1_b32 exec_lo, exec_lo, s13
	s_cbranch_execnz .LBB1_325
; %bb.326:                              ;   in Loop: Header=BB1_282 Depth=1
	s_or_b32 exec_lo, exec_lo, s13
.LBB1_327:                              ;   in Loop: Header=BB1_282 Depth=1
	s_delay_alu instid0(SALU_CYCLE_1)
	s_or_b32 exec_lo, exec_lo, s7
	s_mov_b32 s1, 0
                                        ; implicit-def: $vgpr6
.LBB1_328:                              ;   in Loop: Header=BB1_282 Depth=1
	s_or_saveexec_b32 s0, s6
	v_mov_b32_e32 v24, s1
	s_xor_b32 exec_lo, exec_lo, s0
	s_cbranch_execz .LBB1_330
; %bb.329:                              ;   in Loop: Header=BB1_282 Depth=1
	flat_load_b64 v[18:19], v[22:23]
	v_add_co_u32 v22, vcc_lo, v22, 8
	v_add_nc_u32_e32 v24, -8, v6
	v_add_co_ci_u32_e32 v23, vcc_lo, 0, v23, vcc_lo
	s_waitcnt vmcnt(0) lgkmcnt(0)
	v_and_b32_e32 v20, 0xff, v19
	v_and_b32_e32 v21, 0xff00, v19
	;; [unrolled: 1-line block ×4, first 2 shown]
	v_or3_b32 v18, v18, 0, 0
	s_delay_alu instid0(VALU_DEP_4) | instskip(NEXT) | instid1(VALU_DEP_1)
	v_or_b32_e32 v20, v20, v21
	v_or3_b32 v19, v20, v25, v19
.LBB1_330:                              ;   in Loop: Header=BB1_282 Depth=1
	s_or_b32 exec_lo, exec_lo, s0
	s_delay_alu instid0(SALU_CYCLE_1)
	s_mov_b32 s0, exec_lo
	v_cmpx_gt_u32_e32 8, v24
	s_xor_b32 s4, exec_lo, s0
	s_cbranch_execz .LBB1_336
; %bb.331:                              ;   in Loop: Header=BB1_282 Depth=1
	v_mov_b32_e32 v20, 0
	v_mov_b32_e32 v21, 0
	s_mov_b32 s5, exec_lo
	v_cmpx_ne_u32_e32 0, v24
	s_cbranch_execz .LBB1_335
; %bb.332:                              ;   in Loop: Header=BB1_282 Depth=1
	v_mov_b32_e32 v20, 0
	v_mov_b32_e32 v21, 0
	s_mov_b64 s[0:1], 0
	s_mov_b32 s6, 0
	.p2align	6
.LBB1_333:                              ;   Parent Loop BB1_282 Depth=1
                                        ; =>  This Inner Loop Header: Depth=2
	flat_load_u8 v6, v[22:23]
	v_dual_mov_b32 v31, s12 :: v_dual_add_nc_u32 v24, -1, v24
	v_add_co_u32 v22, vcc_lo, v22, 1
	v_add_co_ci_u32_e32 v23, vcc_lo, 0, v23, vcc_lo
	s_delay_alu instid0(VALU_DEP_3) | instskip(SKIP_2) | instid1(VALU_DEP_1)
	v_cmp_eq_u32_e32 vcc_lo, 0, v24
	s_waitcnt vmcnt(0) lgkmcnt(0)
	v_and_b32_e32 v30, 0xffff, v6
	v_lshlrev_b64 v[30:31], s0, v[30:31]
	s_add_u32 s0, s0, 8
	s_addc_u32 s1, s1, 0
	s_or_b32 s6, vcc_lo, s6
	s_delay_alu instid0(VALU_DEP_1) | instskip(NEXT) | instid1(VALU_DEP_2)
	v_or_b32_e32 v21, v31, v21
	v_or_b32_e32 v20, v30, v20
	s_and_not1_b32 exec_lo, exec_lo, s6
	s_cbranch_execnz .LBB1_333
; %bb.334:                              ;   in Loop: Header=BB1_282 Depth=1
	s_or_b32 exec_lo, exec_lo, s6
.LBB1_335:                              ;   in Loop: Header=BB1_282 Depth=1
	s_delay_alu instid0(SALU_CYCLE_1)
	s_or_b32 exec_lo, exec_lo, s5
                                        ; implicit-def: $vgpr22_vgpr23
.LBB1_336:                              ;   in Loop: Header=BB1_282 Depth=1
	s_and_not1_saveexec_b32 s0, s4
	s_cbranch_execz .LBB1_338
; %bb.337:                              ;   in Loop: Header=BB1_282 Depth=1
	flat_load_b64 v[20:21], v[22:23]
	s_waitcnt vmcnt(0) lgkmcnt(0)
	v_and_b32_e32 v6, 0xff, v21
	v_and_b32_e32 v22, 0xff00, v21
	;; [unrolled: 1-line block ×4, first 2 shown]
	v_or3_b32 v20, v20, 0, 0
	s_delay_alu instid0(VALU_DEP_4) | instskip(NEXT) | instid1(VALU_DEP_1)
	v_or_b32_e32 v6, v6, v22
	v_or3_b32 v21, v6, v23, v21
.LBB1_338:                              ;   in Loop: Header=BB1_282 Depth=1
	s_or_b32 exec_lo, exec_lo, s0
	v_readfirstlane_b32 s0, v35
	v_mov_b32_e32 v30, 0
	v_mov_b32_e32 v31, 0
	s_delay_alu instid0(VALU_DEP_3) | instskip(NEXT) | instid1(VALU_DEP_1)
	v_cmp_eq_u32_e64 s0, s0, v35
	s_and_saveexec_b32 s1, s0
	s_cbranch_execz .LBB1_344
; %bb.339:                              ;   in Loop: Header=BB1_282 Depth=1
	global_load_b64 v[24:25], v7, s[2:3] offset:24 glc
	s_waitcnt vmcnt(0)
	buffer_gl1_inv
	buffer_gl0_inv
	s_clause 0x1
	global_load_b64 v[22:23], v7, s[2:3] offset:40
	global_load_b64 v[30:31], v7, s[2:3]
	s_mov_b32 s4, exec_lo
	s_waitcnt vmcnt(1)
	v_and_b32_e32 v6, v23, v25
	v_and_b32_e32 v22, v22, v24
	s_delay_alu instid0(VALU_DEP_2) | instskip(NEXT) | instid1(VALU_DEP_2)
	v_mul_lo_u32 v6, v6, 24
	v_mul_hi_u32 v23, v22, 24
	v_mul_lo_u32 v22, v22, 24
	s_delay_alu instid0(VALU_DEP_2) | instskip(SKIP_1) | instid1(VALU_DEP_2)
	v_add_nc_u32_e32 v6, v23, v6
	s_waitcnt vmcnt(0)
	v_add_co_u32 v22, vcc_lo, v30, v22
	s_delay_alu instid0(VALU_DEP_2)
	v_add_co_ci_u32_e32 v23, vcc_lo, v31, v6, vcc_lo
	global_load_b64 v[22:23], v[22:23], off glc
	s_waitcnt vmcnt(0)
	global_atomic_cmpswap_b64 v[30:31], v7, v[22:25], s[2:3] offset:24 glc
	s_waitcnt vmcnt(0)
	buffer_gl1_inv
	buffer_gl0_inv
	v_cmpx_ne_u64_e64 v[30:31], v[24:25]
	s_cbranch_execz .LBB1_343
; %bb.340:                              ;   in Loop: Header=BB1_282 Depth=1
	s_mov_b32 s5, 0
	.p2align	6
.LBB1_341:                              ;   Parent Loop BB1_282 Depth=1
                                        ; =>  This Inner Loop Header: Depth=2
	s_sleep 1
	s_clause 0x1
	global_load_b64 v[22:23], v7, s[2:3] offset:40
	global_load_b64 v[36:37], v7, s[2:3]
	v_dual_mov_b32 v24, v30 :: v_dual_mov_b32 v25, v31
	s_waitcnt vmcnt(1)
	s_delay_alu instid0(VALU_DEP_1) | instskip(NEXT) | instid1(VALU_DEP_2)
	v_and_b32_e32 v6, v22, v24
	v_and_b32_e32 v33, v23, v25
	s_waitcnt vmcnt(0)
	s_delay_alu instid0(VALU_DEP_2) | instskip(NEXT) | instid1(VALU_DEP_1)
	v_mad_u64_u32 v[30:31], null, v6, 24, v[36:37]
	v_mov_b32_e32 v6, v31
	s_delay_alu instid0(VALU_DEP_1) | instskip(NEXT) | instid1(VALU_DEP_1)
	v_mad_u64_u32 v[22:23], null, v33, 24, v[6:7]
	v_mov_b32_e32 v31, v22
	global_load_b64 v[22:23], v[30:31], off glc
	s_waitcnt vmcnt(0)
	global_atomic_cmpswap_b64 v[30:31], v7, v[22:25], s[2:3] offset:24 glc
	s_waitcnt vmcnt(0)
	buffer_gl1_inv
	buffer_gl0_inv
	v_cmp_eq_u64_e32 vcc_lo, v[30:31], v[24:25]
	s_or_b32 s5, vcc_lo, s5
	s_delay_alu instid0(SALU_CYCLE_1)
	s_and_not1_b32 exec_lo, exec_lo, s5
	s_cbranch_execnz .LBB1_341
; %bb.342:                              ;   in Loop: Header=BB1_282 Depth=1
	s_or_b32 exec_lo, exec_lo, s5
.LBB1_343:                              ;   in Loop: Header=BB1_282 Depth=1
	s_delay_alu instid0(SALU_CYCLE_1)
	s_or_b32 exec_lo, exec_lo, s4
.LBB1_344:                              ;   in Loop: Header=BB1_282 Depth=1
	s_delay_alu instid0(SALU_CYCLE_1)
	s_or_b32 exec_lo, exec_lo, s1
	s_clause 0x1
	global_load_b64 v[36:37], v7, s[2:3] offset:40
	global_load_b128 v[22:25], v7, s[2:3]
	v_readfirstlane_b32 s4, v30
	v_readfirstlane_b32 s5, v31
	s_mov_b32 s1, exec_lo
	s_waitcnt vmcnt(1)
	v_readfirstlane_b32 s6, v36
	v_readfirstlane_b32 s7, v37
	s_delay_alu instid0(VALU_DEP_1) | instskip(NEXT) | instid1(SALU_CYCLE_1)
	s_and_b64 s[6:7], s[4:5], s[6:7]
	s_mul_i32 s13, s7, 24
	s_mul_hi_u32 s14, s6, 24
	s_mul_i32 s15, s6, 24
	s_add_i32 s14, s14, s13
	s_waitcnt vmcnt(0)
	v_add_co_u32 v30, vcc_lo, v22, s15
	v_add_co_ci_u32_e32 v31, vcc_lo, s14, v23, vcc_lo
	s_and_saveexec_b32 s13, s0
	s_cbranch_execz .LBB1_346
; %bb.345:                              ;   in Loop: Header=BB1_282 Depth=1
	v_mov_b32_e32 v6, s1
	global_store_b128 v[30:31], v[6:9], off offset:8
.LBB1_346:                              ;   in Loop: Header=BB1_282 Depth=1
	s_or_b32 exec_lo, exec_lo, s13
	v_cmp_lt_u64_e32 vcc_lo, 56, v[26:27]
	v_or_b32_e32 v6, 0, v1
	v_or_b32_e32 v33, v0, v32
	v_lshl_add_u32 v36, v28, 2, 28
	s_lshl_b64 s[6:7], s[6:7], 12
	s_delay_alu instid0(SALU_CYCLE_1) | instskip(NEXT) | instid1(VALU_DEP_1)
	v_add_co_u32 v24, s1, v24, s6
	v_add_co_ci_u32_e64 v25, s1, s7, v25, s1
	v_dual_cndmask_b32 v1, v6, v1 :: v_dual_cndmask_b32 v0, v33, v0
	v_and_b32_e32 v6, 0x1e0, v36
	s_delay_alu instid0(VALU_DEP_4) | instskip(NEXT) | instid1(VALU_DEP_4)
	v_readfirstlane_b32 s6, v24
	v_readfirstlane_b32 s7, v25
	s_delay_alu instid0(VALU_DEP_3)
	v_and_or_b32 v0, 0xffffff1f, v0, v6
	s_clause 0x3
	global_store_b128 v34, v[0:3], s[6:7]
	global_store_b128 v34, v[10:13], s[6:7] offset:16
	global_store_b128 v34, v[14:17], s[6:7] offset:32
	;; [unrolled: 1-line block ×3, first 2 shown]
	s_and_saveexec_b32 s1, s0
	s_cbranch_execz .LBB1_354
; %bb.347:                              ;   in Loop: Header=BB1_282 Depth=1
	s_clause 0x1
	global_load_b64 v[14:15], v7, s[2:3] offset:32 glc
	global_load_b64 v[0:1], v7, s[2:3] offset:40
	v_dual_mov_b32 v12, s4 :: v_dual_mov_b32 v13, s5
	s_waitcnt vmcnt(0)
	v_readfirstlane_b32 s6, v0
	v_readfirstlane_b32 s7, v1
	s_delay_alu instid0(VALU_DEP_1) | instskip(NEXT) | instid1(SALU_CYCLE_1)
	s_and_b64 s[6:7], s[6:7], s[4:5]
	s_mul_i32 s7, s7, 24
	s_mul_hi_u32 s13, s6, 24
	s_mul_i32 s6, s6, 24
	s_add_i32 s13, s13, s7
	v_add_co_u32 v10, vcc_lo, v22, s6
	v_add_co_ci_u32_e32 v11, vcc_lo, s13, v23, vcc_lo
	s_mov_b32 s6, exec_lo
	global_store_b64 v[10:11], v[14:15], off
	s_waitcnt_vscnt null, 0x0
	global_atomic_cmpswap_b64 v[2:3], v7, v[12:15], s[2:3] offset:32 glc
	s_waitcnt vmcnt(0)
	v_cmpx_ne_u64_e64 v[2:3], v[14:15]
	s_cbranch_execz .LBB1_350
; %bb.348:                              ;   in Loop: Header=BB1_282 Depth=1
	s_mov_b32 s7, 0
.LBB1_349:                              ;   Parent Loop BB1_282 Depth=1
                                        ; =>  This Inner Loop Header: Depth=2
	v_dual_mov_b32 v0, s4 :: v_dual_mov_b32 v1, s5
	s_sleep 1
	global_store_b64 v[10:11], v[2:3], off
	s_waitcnt_vscnt null, 0x0
	global_atomic_cmpswap_b64 v[0:1], v7, v[0:3], s[2:3] offset:32 glc
	s_waitcnt vmcnt(0)
	v_cmp_eq_u64_e32 vcc_lo, v[0:1], v[2:3]
	v_dual_mov_b32 v3, v1 :: v_dual_mov_b32 v2, v0
	s_or_b32 s7, vcc_lo, s7
	s_delay_alu instid0(SALU_CYCLE_1)
	s_and_not1_b32 exec_lo, exec_lo, s7
	s_cbranch_execnz .LBB1_349
.LBB1_350:                              ;   in Loop: Header=BB1_282 Depth=1
	s_or_b32 exec_lo, exec_lo, s6
	global_load_b64 v[0:1], v7, s[2:3] offset:16
	s_mov_b32 s7, exec_lo
	s_mov_b32 s6, exec_lo
	v_mbcnt_lo_u32_b32 v2, s7, 0
	s_delay_alu instid0(VALU_DEP_1)
	v_cmpx_eq_u32_e32 0, v2
	s_cbranch_execz .LBB1_352
; %bb.351:                              ;   in Loop: Header=BB1_282 Depth=1
	s_bcnt1_i32_b32 s7, s7
	s_delay_alu instid0(SALU_CYCLE_1)
	v_mov_b32_e32 v6, s7
	s_waitcnt vmcnt(0)
	global_atomic_add_u64 v[0:1], v[6:7], off offset:8
.LBB1_352:                              ;   in Loop: Header=BB1_282 Depth=1
	s_or_b32 exec_lo, exec_lo, s6
	s_waitcnt vmcnt(0)
	global_load_b64 v[2:3], v[0:1], off offset:16
	s_waitcnt vmcnt(0)
	v_cmp_eq_u64_e32 vcc_lo, 0, v[2:3]
	s_cbranch_vccnz .LBB1_354
; %bb.353:                              ;   in Loop: Header=BB1_282 Depth=1
	global_load_b32 v6, v[0:1], off offset:24
	s_waitcnt vmcnt(0)
	v_and_b32_e32 v0, 0xffffff, v6
	s_waitcnt_vscnt null, 0x0
	global_store_b64 v[2:3], v[6:7], off
	v_readfirstlane_b32 m0, v0
	s_sendmsg sendmsg(MSG_INTERRUPT)
.LBB1_354:                              ;   in Loop: Header=BB1_282 Depth=1
	s_or_b32 exec_lo, exec_lo, s1
	v_add_co_u32 v0, vcc_lo, v24, v34
	v_add_co_ci_u32_e32 v1, vcc_lo, 0, v25, vcc_lo
	s_branch .LBB1_358
	.p2align	6
.LBB1_355:                              ;   in Loop: Header=BB1_358 Depth=2
	s_or_b32 exec_lo, exec_lo, s1
	s_delay_alu instid0(VALU_DEP_1) | instskip(NEXT) | instid1(VALU_DEP_1)
	v_readfirstlane_b32 s1, v2
	s_cmp_eq_u32 s1, 0
	s_cbranch_scc1 .LBB1_357
; %bb.356:                              ;   in Loop: Header=BB1_358 Depth=2
	s_sleep 1
	s_cbranch_execnz .LBB1_358
	s_branch .LBB1_360
	.p2align	6
.LBB1_357:                              ;   in Loop: Header=BB1_282 Depth=1
	s_branch .LBB1_360
.LBB1_358:                              ;   Parent Loop BB1_282 Depth=1
                                        ; =>  This Inner Loop Header: Depth=2
	v_mov_b32_e32 v2, 1
	s_and_saveexec_b32 s1, s0
	s_cbranch_execz .LBB1_355
; %bb.359:                              ;   in Loop: Header=BB1_358 Depth=2
	global_load_b32 v2, v[30:31], off offset:20 glc
	s_waitcnt vmcnt(0)
	buffer_gl1_inv
	buffer_gl0_inv
	v_and_b32_e32 v2, 1, v2
	s_branch .LBB1_355
.LBB1_360:                              ;   in Loop: Header=BB1_282 Depth=1
	global_load_b128 v[0:3], v[0:1], off
	s_and_saveexec_b32 s1, s0
	s_cbranch_execz .LBB1_281
; %bb.361:                              ;   in Loop: Header=BB1_282 Depth=1
	s_clause 0x2
	global_load_b64 v[2:3], v7, s[2:3] offset:40
	global_load_b64 v[14:15], v7, s[2:3] offset:24 glc
	global_load_b64 v[12:13], v7, s[2:3]
	s_waitcnt vmcnt(2)
	v_add_co_u32 v6, vcc_lo, v2, 1
	v_add_co_ci_u32_e32 v16, vcc_lo, 0, v3, vcc_lo
	s_delay_alu instid0(VALU_DEP_2) | instskip(NEXT) | instid1(VALU_DEP_2)
	v_add_co_u32 v10, vcc_lo, v6, s4
	v_add_co_ci_u32_e32 v11, vcc_lo, s5, v16, vcc_lo
	s_delay_alu instid0(VALU_DEP_1) | instskip(SKIP_1) | instid1(VALU_DEP_1)
	v_cmp_eq_u64_e32 vcc_lo, 0, v[10:11]
	v_dual_cndmask_b32 v11, v11, v16 :: v_dual_cndmask_b32 v10, v10, v6
	v_and_b32_e32 v3, v11, v3
	s_delay_alu instid0(VALU_DEP_2) | instskip(NEXT) | instid1(VALU_DEP_1)
	v_and_b32_e32 v2, v10, v2
	v_mul_hi_u32 v6, v2, 24
	v_mul_lo_u32 v2, v2, 24
	s_waitcnt vmcnt(0)
	s_delay_alu instid0(VALU_DEP_1) | instskip(SKIP_2) | instid1(VALU_DEP_1)
	v_add_co_u32 v2, vcc_lo, v12, v2
	v_mov_b32_e32 v12, v14
	v_mul_lo_u32 v3, v3, 24
	v_add_nc_u32_e32 v3, v6, v3
	s_delay_alu instid0(VALU_DEP_1)
	v_add_co_ci_u32_e32 v3, vcc_lo, v13, v3, vcc_lo
	v_mov_b32_e32 v13, v15
	global_store_b64 v[2:3], v[14:15], off
	s_waitcnt_vscnt null, 0x0
	global_atomic_cmpswap_b64 v[12:13], v7, v[10:13], s[2:3] offset:24 glc
	s_waitcnt vmcnt(0)
	v_cmp_ne_u64_e32 vcc_lo, v[12:13], v[14:15]
	s_and_b32 exec_lo, exec_lo, vcc_lo
	s_cbranch_execz .LBB1_281
; %bb.362:                              ;   in Loop: Header=BB1_282 Depth=1
	s_mov_b32 s0, 0
.LBB1_363:                              ;   Parent Loop BB1_282 Depth=1
                                        ; =>  This Inner Loop Header: Depth=2
	s_sleep 1
	global_store_b64 v[2:3], v[12:13], off
	s_waitcnt_vscnt null, 0x0
	global_atomic_cmpswap_b64 v[14:15], v7, v[10:13], s[2:3] offset:24 glc
	s_waitcnt vmcnt(0)
	v_cmp_eq_u64_e32 vcc_lo, v[14:15], v[12:13]
	v_dual_mov_b32 v12, v14 :: v_dual_mov_b32 v13, v15
	s_or_b32 s0, vcc_lo, s0
	s_delay_alu instid0(SALU_CYCLE_1)
	s_and_not1_b32 exec_lo, exec_lo, s0
	s_cbranch_execnz .LBB1_363
	s_branch .LBB1_281
.LBB1_364:
	s_or_b32 exec_lo, exec_lo, s11
                                        ; implicit-def: $vgpr34
                                        ; implicit-def: $vgpr35
.LBB1_365:
	s_and_not1_saveexec_b32 s1, s10
	s_cbranch_execz .LBB1_393
; %bb.366:
	v_readfirstlane_b32 s0, v35
	v_mov_b32_e32 v8, 0
	v_mov_b32_e32 v9, 0
	s_delay_alu instid0(VALU_DEP_3) | instskip(NEXT) | instid1(VALU_DEP_1)
	v_cmp_eq_u32_e64 s0, s0, v35
	s_and_saveexec_b32 s4, s0
	s_cbranch_execz .LBB1_372
; %bb.367:
	s_waitcnt vmcnt(0)
	v_mov_b32_e32 v2, 0
	s_mov_b32 s5, exec_lo
	global_load_b64 v[5:6], v2, s[2:3] offset:24 glc
	s_waitcnt vmcnt(0)
	buffer_gl1_inv
	buffer_gl0_inv
	s_clause 0x1
	global_load_b64 v[3:4], v2, s[2:3] offset:40
	global_load_b64 v[7:8], v2, s[2:3]
	s_waitcnt vmcnt(1)
	v_and_b32_e32 v3, v3, v5
	v_and_b32_e32 v4, v4, v6
	s_delay_alu instid0(VALU_DEP_2) | instskip(NEXT) | instid1(VALU_DEP_2)
	v_mul_hi_u32 v9, v3, 24
	v_mul_lo_u32 v4, v4, 24
	v_mul_lo_u32 v3, v3, 24
	s_delay_alu instid0(VALU_DEP_2) | instskip(SKIP_1) | instid1(VALU_DEP_2)
	v_add_nc_u32_e32 v4, v9, v4
	s_waitcnt vmcnt(0)
	v_add_co_u32 v3, vcc_lo, v7, v3
	s_delay_alu instid0(VALU_DEP_2)
	v_add_co_ci_u32_e32 v4, vcc_lo, v8, v4, vcc_lo
	global_load_b64 v[3:4], v[3:4], off glc
	s_waitcnt vmcnt(0)
	global_atomic_cmpswap_b64 v[8:9], v2, v[3:6], s[2:3] offset:24 glc
	s_waitcnt vmcnt(0)
	buffer_gl1_inv
	buffer_gl0_inv
	v_cmpx_ne_u64_e64 v[8:9], v[5:6]
	s_cbranch_execz .LBB1_371
; %bb.368:
	s_mov_b32 s6, 0
	.p2align	6
.LBB1_369:                              ; =>This Inner Loop Header: Depth=1
	s_sleep 1
	s_clause 0x1
	global_load_b64 v[3:4], v2, s[2:3] offset:40
	global_load_b64 v[10:11], v2, s[2:3]
	v_dual_mov_b32 v5, v8 :: v_dual_mov_b32 v6, v9
	s_waitcnt vmcnt(1)
	s_delay_alu instid0(VALU_DEP_1) | instskip(NEXT) | instid1(VALU_DEP_2)
	v_and_b32_e32 v3, v3, v5
	v_and_b32_e32 v4, v4, v6
	s_waitcnt vmcnt(0)
	s_delay_alu instid0(VALU_DEP_2) | instskip(NEXT) | instid1(VALU_DEP_1)
	v_mad_u64_u32 v[7:8], null, v3, 24, v[10:11]
	v_mov_b32_e32 v3, v8
	s_delay_alu instid0(VALU_DEP_1)
	v_mad_u64_u32 v[8:9], null, v4, 24, v[3:4]
	global_load_b64 v[3:4], v[7:8], off glc
	s_waitcnt vmcnt(0)
	global_atomic_cmpswap_b64 v[8:9], v2, v[3:6], s[2:3] offset:24 glc
	s_waitcnt vmcnt(0)
	buffer_gl1_inv
	buffer_gl0_inv
	v_cmp_eq_u64_e32 vcc_lo, v[8:9], v[5:6]
	s_or_b32 s6, vcc_lo, s6
	s_delay_alu instid0(SALU_CYCLE_1)
	s_and_not1_b32 exec_lo, exec_lo, s6
	s_cbranch_execnz .LBB1_369
; %bb.370:
	s_or_b32 exec_lo, exec_lo, s6
.LBB1_371:
	s_delay_alu instid0(SALU_CYCLE_1)
	s_or_b32 exec_lo, exec_lo, s5
.LBB1_372:
	s_delay_alu instid0(SALU_CYCLE_1)
	s_or_b32 exec_lo, exec_lo, s4
	s_waitcnt vmcnt(0)
	v_mov_b32_e32 v2, 0
	v_readfirstlane_b32 s4, v8
	v_readfirstlane_b32 s5, v9
	s_mov_b32 s10, exec_lo
	s_clause 0x1
	global_load_b64 v[10:11], v2, s[2:3] offset:40
	global_load_b128 v[4:7], v2, s[2:3]
	s_waitcnt vmcnt(1)
	v_readfirstlane_b32 s6, v10
	v_readfirstlane_b32 s7, v11
	s_delay_alu instid0(VALU_DEP_1) | instskip(NEXT) | instid1(SALU_CYCLE_1)
	s_and_b64 s[6:7], s[4:5], s[6:7]
	s_mul_i32 s11, s7, 24
	s_mul_hi_u32 s12, s6, 24
	s_mul_i32 s13, s6, 24
	s_add_i32 s12, s12, s11
	s_waitcnt vmcnt(0)
	v_add_co_u32 v8, vcc_lo, v4, s13
	v_add_co_ci_u32_e32 v9, vcc_lo, s12, v5, vcc_lo
	s_and_saveexec_b32 s11, s0
	s_cbranch_execz .LBB1_374
; %bb.373:
	v_dual_mov_b32 v10, s10 :: v_dual_mov_b32 v11, v2
	v_dual_mov_b32 v12, 2 :: v_dual_mov_b32 v13, 1
	global_store_b128 v[8:9], v[10:13], off offset:8
.LBB1_374:
	s_or_b32 exec_lo, exec_lo, s11
	s_lshl_b64 s[6:7], s[6:7], 12
	s_mov_b32 s12, 0
	v_add_co_u32 v6, vcc_lo, v6, s6
	v_add_co_ci_u32_e32 v7, vcc_lo, s7, v7, vcc_lo
	s_mov_b32 s13, s12
	s_delay_alu instid0(VALU_DEP_2)
	v_readfirstlane_b32 s6, v6
	v_add_co_u32 v6, vcc_lo, v6, v34
	s_mov_b32 s14, s12
	s_mov_b32 s15, s12
	v_and_or_b32 v0, 0xffffff1f, v0, 32
	v_dual_mov_b32 v3, v2 :: v_dual_mov_b32 v10, s12
	v_readfirstlane_b32 s7, v7
	v_add_co_ci_u32_e32 v7, vcc_lo, 0, v7, vcc_lo
	v_dual_mov_b32 v11, s13 :: v_dual_mov_b32 v12, s14
	v_mov_b32_e32 v13, s15
	s_clause 0x3
	global_store_b128 v34, v[0:3], s[6:7]
	global_store_b128 v34, v[10:13], s[6:7] offset:16
	global_store_b128 v34, v[10:13], s[6:7] offset:32
	;; [unrolled: 1-line block ×3, first 2 shown]
	s_and_saveexec_b32 s6, s0
	s_cbranch_execz .LBB1_382
; %bb.375:
	v_dual_mov_b32 v10, 0 :: v_dual_mov_b32 v11, s4
	v_mov_b32_e32 v12, s5
	s_clause 0x1
	global_load_b64 v[13:14], v10, s[2:3] offset:32 glc
	global_load_b64 v[0:1], v10, s[2:3] offset:40
	s_waitcnt vmcnt(0)
	v_readfirstlane_b32 s10, v0
	v_readfirstlane_b32 s11, v1
	s_delay_alu instid0(VALU_DEP_1) | instskip(NEXT) | instid1(SALU_CYCLE_1)
	s_and_b64 s[10:11], s[10:11], s[4:5]
	s_mul_i32 s7, s11, 24
	s_mul_hi_u32 s11, s10, 24
	s_mul_i32 s10, s10, 24
	s_add_i32 s11, s11, s7
	v_add_co_u32 v4, vcc_lo, v4, s10
	v_add_co_ci_u32_e32 v5, vcc_lo, s11, v5, vcc_lo
	s_mov_b32 s7, exec_lo
	global_store_b64 v[4:5], v[13:14], off
	s_waitcnt_vscnt null, 0x0
	global_atomic_cmpswap_b64 v[2:3], v10, v[11:14], s[2:3] offset:32 glc
	s_waitcnt vmcnt(0)
	v_cmpx_ne_u64_e64 v[2:3], v[13:14]
	s_cbranch_execz .LBB1_378
; %bb.376:
	s_mov_b32 s10, 0
.LBB1_377:                              ; =>This Inner Loop Header: Depth=1
	v_dual_mov_b32 v0, s4 :: v_dual_mov_b32 v1, s5
	s_sleep 1
	global_store_b64 v[4:5], v[2:3], off
	s_waitcnt_vscnt null, 0x0
	global_atomic_cmpswap_b64 v[0:1], v10, v[0:3], s[2:3] offset:32 glc
	s_waitcnt vmcnt(0)
	v_cmp_eq_u64_e32 vcc_lo, v[0:1], v[2:3]
	v_dual_mov_b32 v3, v1 :: v_dual_mov_b32 v2, v0
	s_or_b32 s10, vcc_lo, s10
	s_delay_alu instid0(SALU_CYCLE_1)
	s_and_not1_b32 exec_lo, exec_lo, s10
	s_cbranch_execnz .LBB1_377
.LBB1_378:
	s_or_b32 exec_lo, exec_lo, s7
	v_mov_b32_e32 v3, 0
	s_mov_b32 s10, exec_lo
	s_mov_b32 s7, exec_lo
	v_mbcnt_lo_u32_b32 v2, s10, 0
	global_load_b64 v[0:1], v3, s[2:3] offset:16
	v_cmpx_eq_u32_e32 0, v2
	s_cbranch_execz .LBB1_380
; %bb.379:
	s_bcnt1_i32_b32 s10, s10
	s_delay_alu instid0(SALU_CYCLE_1)
	v_mov_b32_e32 v2, s10
	s_waitcnt vmcnt(0)
	global_atomic_add_u64 v[0:1], v[2:3], off offset:8
.LBB1_380:
	s_or_b32 exec_lo, exec_lo, s7
	s_waitcnt vmcnt(0)
	global_load_b64 v[2:3], v[0:1], off offset:16
	s_waitcnt vmcnt(0)
	v_cmp_eq_u64_e32 vcc_lo, 0, v[2:3]
	s_cbranch_vccnz .LBB1_382
; %bb.381:
	global_load_b32 v0, v[0:1], off offset:24
	s_waitcnt vmcnt(0)
	v_dual_mov_b32 v1, 0 :: v_dual_and_b32 v4, 0xffffff, v0
	s_waitcnt_vscnt null, 0x0
	global_store_b64 v[2:3], v[0:1], off
	v_readfirstlane_b32 m0, v4
	s_sendmsg sendmsg(MSG_INTERRUPT)
.LBB1_382:
	s_or_b32 exec_lo, exec_lo, s6
	s_branch .LBB1_386
	.p2align	6
.LBB1_383:                              ;   in Loop: Header=BB1_386 Depth=1
	s_or_b32 exec_lo, exec_lo, s6
	s_delay_alu instid0(VALU_DEP_1) | instskip(NEXT) | instid1(VALU_DEP_1)
	v_readfirstlane_b32 s6, v0
	s_cmp_eq_u32 s6, 0
	s_cbranch_scc1 .LBB1_385
; %bb.384:                              ;   in Loop: Header=BB1_386 Depth=1
	s_sleep 1
	s_cbranch_execnz .LBB1_386
	s_branch .LBB1_388
	.p2align	6
.LBB1_385:
	s_branch .LBB1_388
.LBB1_386:                              ; =>This Inner Loop Header: Depth=1
	v_mov_b32_e32 v0, 1
	s_and_saveexec_b32 s6, s0
	s_cbranch_execz .LBB1_383
; %bb.387:                              ;   in Loop: Header=BB1_386 Depth=1
	global_load_b32 v0, v[8:9], off offset:20 glc
	s_waitcnt vmcnt(0)
	buffer_gl1_inv
	buffer_gl0_inv
	v_and_b32_e32 v0, 1, v0
	s_branch .LBB1_383
.LBB1_388:
	global_load_b64 v[0:1], v[6:7], off
	s_and_saveexec_b32 s6, s0
	s_cbranch_execz .LBB1_392
; %bb.389:
	v_mov_b32_e32 v8, 0
	s_clause 0x2
	global_load_b64 v[4:5], v8, s[2:3] offset:40
	global_load_b64 v[9:10], v8, s[2:3] offset:24 glc
	global_load_b64 v[6:7], v8, s[2:3]
	s_waitcnt vmcnt(2)
	v_add_co_u32 v11, vcc_lo, v4, 1
	v_add_co_ci_u32_e32 v12, vcc_lo, 0, v5, vcc_lo
	s_delay_alu instid0(VALU_DEP_2) | instskip(NEXT) | instid1(VALU_DEP_2)
	v_add_co_u32 v2, vcc_lo, v11, s4
	v_add_co_ci_u32_e32 v3, vcc_lo, s5, v12, vcc_lo
	s_delay_alu instid0(VALU_DEP_1) | instskip(SKIP_1) | instid1(VALU_DEP_1)
	v_cmp_eq_u64_e32 vcc_lo, 0, v[2:3]
	v_dual_cndmask_b32 v3, v3, v12 :: v_dual_cndmask_b32 v2, v2, v11
	v_and_b32_e32 v5, v3, v5
	s_delay_alu instid0(VALU_DEP_2) | instskip(NEXT) | instid1(VALU_DEP_2)
	v_and_b32_e32 v4, v2, v4
	v_mul_lo_u32 v5, v5, 24
	s_delay_alu instid0(VALU_DEP_2) | instskip(SKIP_1) | instid1(VALU_DEP_2)
	v_mul_hi_u32 v11, v4, 24
	v_mul_lo_u32 v4, v4, 24
	v_add_nc_u32_e32 v5, v11, v5
	s_waitcnt vmcnt(0)
	s_delay_alu instid0(VALU_DEP_2) | instskip(SKIP_1) | instid1(VALU_DEP_3)
	v_add_co_u32 v6, vcc_lo, v6, v4
	v_mov_b32_e32 v4, v9
	v_add_co_ci_u32_e32 v7, vcc_lo, v7, v5, vcc_lo
	v_mov_b32_e32 v5, v10
	global_store_b64 v[6:7], v[9:10], off
	s_waitcnt_vscnt null, 0x0
	global_atomic_cmpswap_b64 v[4:5], v8, v[2:5], s[2:3] offset:24 glc
	s_waitcnt vmcnt(0)
	v_cmp_ne_u64_e32 vcc_lo, v[4:5], v[9:10]
	s_and_b32 exec_lo, exec_lo, vcc_lo
	s_cbranch_execz .LBB1_392
; %bb.390:
	s_mov_b32 s0, 0
.LBB1_391:                              ; =>This Inner Loop Header: Depth=1
	s_sleep 1
	global_store_b64 v[6:7], v[4:5], off
	s_waitcnt_vscnt null, 0x0
	global_atomic_cmpswap_b64 v[9:10], v8, v[2:5], s[2:3] offset:24 glc
	s_waitcnt vmcnt(0)
	v_cmp_eq_u64_e32 vcc_lo, v[9:10], v[4:5]
	v_dual_mov_b32 v4, v9 :: v_dual_mov_b32 v5, v10
	s_or_b32 s0, vcc_lo, s0
	s_delay_alu instid0(SALU_CYCLE_1)
	s_and_not1_b32 exec_lo, exec_lo, s0
	s_cbranch_execnz .LBB1_391
.LBB1_392:
	s_or_b32 exec_lo, exec_lo, s6
.LBB1_393:
	s_delay_alu instid0(SALU_CYCLE_1)
	s_or_b32 exec_lo, exec_lo, s1
	s_getpc_b64 s[0:1]
	s_add_u32 s0, s0, .str@rel32@lo+4
	s_addc_u32 s1, s1, .str@rel32@hi+12
	s_getpc_b64 s[2:3]
	s_add_u32 s2, s2, .str@rel32@lo+54
	s_addc_u32 s3, s3, .str@rel32@hi+62
	s_sub_i32 s4, s2, s0
	s_getpc_b64 s[2:3]
	s_add_u32 s2, s2, __ockl_fprintf_append_string_n@rel32@lo+4
	s_addc_u32 s3, s3, __ockl_fprintf_append_string_n@rel32@hi+12
	s_ashr_i32 s5, s4, 31
	s_waitcnt vmcnt(0)
	v_dual_mov_b32 v2, s0 :: v_dual_mov_b32 v3, s1
	v_dual_mov_b32 v4, s4 :: v_dual_mov_b32 v5, s5
	v_mov_b32_e32 v6, 1
	s_swappc_b64 s[30:31], s[2:3]
	s_trap 2
	s_sendmsg_rtn_b32 s0, sendmsg(MSG_RTN_GET_DOORBELL)
	s_mov_b32 ttmp2, m0
	s_waitcnt lgkmcnt(0)
	s_and_b32 s0, s0, 0x3ff
	s_delay_alu instid0(SALU_CYCLE_1) | instskip(NEXT) | instid1(SALU_CYCLE_1)
	s_bitset1_b32 s0, 10
	s_mov_b32 m0, s0
	s_sendmsg sendmsg(MSG_INTERRUPT)
	s_mov_b32 m0, ttmp2
.LBB1_394:                              ; =>This Inner Loop Header: Depth=1
	s_sethalt 5
	s_branch .LBB1_394
.Lfunc_end1:
	.size	__assert_fail, .Lfunc_end1-__assert_fail
                                        ; -- End function
	.section	.AMDGPU.csdata,"",@progbits
; Function info:
; codeLenInByte = 16176
; NumSgprs: 36
; NumVgprs: 41
; ScratchSize: 64
; MemoryBound: 0
	.text
	.protected	Transform_S_S_111_16_16_VW_1 ; -- Begin function Transform_S_S_111_16_16_VW_1
	.globl	Transform_S_S_111_16_16_VW_1
	.p2align	8
	.type	Transform_S_S_111_16_16_VW_1,@function
Transform_S_S_111_16_16_VW_1:           ; @Transform_S_S_111_16_16_VW_1
; %bb.0:
	s_mov_b64 s[22:23], s[0:1]
	s_load_b32 s0, s[0:1], 0x64
	v_mov_b32_e32 v41, v0
	s_mov_b32 s21, s15
	s_mov_b32 s24, s14
	;; [unrolled: 1-line block ×3, first 2 shown]
	s_waitcnt lgkmcnt(0)
	v_cmp_eq_u16_e64 s0, 0x100, s0
	s_delay_alu instid0(VALU_DEP_1)
	s_and_b32 vcc_lo, exec_lo, s0
	s_mov_b32 s0, -1
	s_cbranch_vccnz .LBB2_2
; %bb.1:
	s_add_u32 s8, s22, 0x58
	s_addc_u32 s9, s23, 0
	s_getpc_b64 s[0:1]
	s_add_u32 s0, s0, __PRETTY_FUNCTION__._ZN10amd_detail9transformIffLb1ELb1ELb1ELj16ELj16ELj1EEEvPT_PKS1_S4_T0_PKS5_S5_S7_jjjjjjbb@rel32@lo+4
	s_addc_u32 s1, s1, __PRETTY_FUNCTION__._ZN10amd_detail9transformIffLb1ELb1ELb1ELj16ELj16ELj1EEEvPT_PKS1_S4_T0_PKS5_S5_S7_jjjjjjbb@rel32@hi+12
	s_delay_alu instid0(SALU_CYCLE_1) | instskip(SKIP_3) | instid1(SALU_CYCLE_1)
	v_dual_mov_b32 v0, s0 :: v_dual_mov_b32 v1, s1
	s_getpc_b64 s[2:3]
	s_add_u32 s2, s2, __assert_fail@rel32@lo+4
	s_addc_u32 s3, s3, __assert_fail@rel32@hi+12
	s_swappc_b64 s[30:31], s[2:3]
	; divergent unreachable
	s_mov_b32 s0, 0
.LBB2_2:
	s_delay_alu instid0(SALU_CYCLE_1)
	s_and_not1_b32 vcc_lo, exec_lo, s0
	s_cbranch_vccnz .LBB2_14
; %bb.3:
	s_load_b256 s[0:7], s[22:23], 0x38
	s_waitcnt lgkmcnt(0)
	s_and_b32 s7, s0, 15
	s_lshr_b32 s8, s0, 4
	s_cmp_lg_u32 s7, 0
	s_cselect_b32 s7, -1, 0
	s_delay_alu instid0(SALU_CYCLE_1) | instskip(SKIP_4) | instid1(VALU_DEP_1)
	s_cmp_lg_u32 s7, 0
	s_addc_u32 s10, s8, 0
	s_load_b64 s[8:9], s[22:23], 0x20
	v_cvt_f32_u32_e32 v0, s10
	s_sub_i32 s11, 0, s10
	v_rcp_iflag_f32_e32 v0, v0
	s_waitcnt_depctr 0xfff
	v_mul_f32_e32 v0, 0x4f7ffffe, v0
	s_delay_alu instid0(VALU_DEP_1) | instskip(NEXT) | instid1(VALU_DEP_1)
	v_cvt_u32_f32_e32 v0, v0
	v_readfirstlane_b32 s7, v0
	s_delay_alu instid0(VALU_DEP_1) | instskip(NEXT) | instid1(SALU_CYCLE_1)
	s_mul_i32 s11, s11, s7
	s_mul_hi_u32 s11, s7, s11
	s_delay_alu instid0(SALU_CYCLE_1)
	s_add_i32 s7, s7, s11
	s_waitcnt lgkmcnt(0)
	s_cmp_eq_u64 s[8:9], 0
	s_mul_hi_u32 s11, s24, s7
	s_cbranch_scc1 .LBB2_6
; %bb.4:
	s_load_b32 s7, s[8:9], 0x0
	s_load_b64 s[8:9], s[22:23], 0x30
	s_waitcnt lgkmcnt(0)
	s_cmp_eq_u64 s[8:9], 0
	s_cbranch_scc1 .LBB2_7
.LBB2_5:
	s_load_b32 s12, s[8:9], 0x0
	s_branch .LBB2_8
.LBB2_6:
	s_clause 0x1
	s_load_b32 s7, s[22:23], 0x18
	s_load_b64 s[8:9], s[22:23], 0x30
	s_waitcnt lgkmcnt(0)
	s_cmp_eq_u64 s[8:9], 0
	s_cbranch_scc0 .LBB2_5
.LBB2_7:
	s_load_b32 s12, s[22:23], 0x28
.LBB2_8:
	s_mul_i32 s8, s11, s10
	s_add_i32 s9, s11, 1
	s_sub_i32 s8, s24, s8
	v_and_b32_e32 v0, 15, v41
	s_sub_i32 s13, s8, s10
	s_cmp_ge_u32 s8, s10
	v_lshrrev_b32_e32 v2, 4, v41
	s_cselect_b32 s9, s9, s11
	s_cselect_b32 s8, s13, s8
	s_add_i32 s11, s9, 1
	s_cmp_ge_u32 s8, s10
	s_cselect_b32 s8, s11, s9
	s_delay_alu instid0(SALU_CYCLE_1) | instskip(NEXT) | instid1(SALU_CYCLE_1)
	s_mul_i32 s9, s8, s10
	s_sub_i32 s9, s24, s9
	s_delay_alu instid0(SALU_CYCLE_1) | instskip(SKIP_1) | instid1(VALU_DEP_2)
	v_lshl_or_b32 v1, s9, 4, v0
	v_lshl_add_u32 v0, s8, 4, v2
	v_cmp_gt_u32_e32 vcc_lo, s0, v1
	s_delay_alu instid0(VALU_DEP_2) | instskip(NEXT) | instid1(VALU_DEP_1)
	v_cmp_gt_u32_e64 s0, s1, v0
	s_and_b32 s0, vcc_lo, s0
	s_delay_alu instid0(SALU_CYCLE_1)
	s_and_saveexec_b32 s1, s0
	s_cbranch_execz .LBB2_14
; %bb.9:
	s_clause 0x1
	s_load_b128 s[8:11], s[22:23], 0x0
	s_load_b64 s[0:1], s[22:23], 0x10
	v_dual_mov_b32 v3, 0 :: v_dual_mov_b32 v2, 0
	s_mul_i32 s21, s21, s5
	s_waitcnt lgkmcnt(0)
	s_cmp_eq_u64 s[10:11], 0
	s_cbranch_scc1 .LBB2_11
; %bb.10:
	s_bitcmp1_b32 s6, 0
	v_mov_b32_e32 v5, 0
	s_cselect_b32 vcc_lo, -1, 0
	v_cndmask_b32_e32 v2, v1, v0, vcc_lo
	v_cndmask_b32_e32 v4, v0, v1, vcc_lo
	s_delay_alu instid0(VALU_DEP_2) | instskip(NEXT) | instid1(VALU_DEP_1)
	v_mul_lo_u32 v2, v2, s2
	v_add3_u32 v4, v4, s21, v2
	s_delay_alu instid0(VALU_DEP_1) | instskip(NEXT) | instid1(VALU_DEP_1)
	v_lshlrev_b64 v[4:5], 2, v[4:5]
	v_add_co_u32 v4, vcc_lo, s10, v4
	s_delay_alu instid0(VALU_DEP_2)
	v_add_co_ci_u32_e32 v5, vcc_lo, s11, v5, vcc_lo
	global_load_b32 v2, v[4:5], off
.LBB2_11:
	s_cmp_eq_u64 s[0:1], 0
	s_cbranch_scc1 .LBB2_13
; %bb.12:
	s_load_b32 s2, s[22:23], 0x50
	v_mov_b32_e32 v4, 0
	s_waitcnt lgkmcnt(0)
	s_bitcmp1_b32 s2, 8
	s_cselect_b32 vcc_lo, -1, 0
	v_cndmask_b32_e32 v3, v1, v0, vcc_lo
	v_cndmask_b32_e32 v5, v0, v1, vcc_lo
	s_delay_alu instid0(VALU_DEP_2) | instskip(NEXT) | instid1(VALU_DEP_1)
	v_mul_lo_u32 v3, v3, s3
	v_add3_u32 v3, v5, s21, v3
	s_delay_alu instid0(VALU_DEP_1) | instskip(NEXT) | instid1(VALU_DEP_1)
	v_lshlrev_b64 v[3:4], 2, v[3:4]
	v_add_co_u32 v3, vcc_lo, s0, v3
	s_delay_alu instid0(VALU_DEP_2)
	v_add_co_ci_u32_e32 v4, vcc_lo, s1, v4, vcc_lo
	global_load_b32 v3, v[3:4], off
.LBB2_13:
	v_mul_lo_u32 v4, v1, s4
	v_mov_b32_e32 v1, 0
	s_waitcnt vmcnt(0)
	v_mul_f32_e32 v3, s12, v3
	s_delay_alu instid0(VALU_DEP_1) | instskip(NEXT) | instid1(VALU_DEP_4)
	v_fmac_f32_e32 v3, s7, v2
	v_add3_u32 v0, v0, s21, v4
	s_delay_alu instid0(VALU_DEP_1) | instskip(NEXT) | instid1(VALU_DEP_1)
	v_lshlrev_b64 v[0:1], 2, v[0:1]
	v_add_co_u32 v0, vcc_lo, s8, v0
	s_delay_alu instid0(VALU_DEP_2)
	v_add_co_ci_u32_e32 v1, vcc_lo, s9, v1, vcc_lo
	global_store_b32 v[0:1], v3, off
.LBB2_14:
	s_endpgm
	.section	.rodata,"a",@progbits
	.p2align	6, 0x0
	.amdhsa_kernel Transform_S_S_111_16_16_VW_1
		.amdhsa_group_segment_fixed_size 0
		.amdhsa_private_segment_fixed_size 64
		.amdhsa_kernarg_size 344
		.amdhsa_user_sgpr_count 14
		.amdhsa_user_sgpr_dispatch_ptr 0
		.amdhsa_user_sgpr_queue_ptr 0
		.amdhsa_user_sgpr_kernarg_segment_ptr 1
		.amdhsa_user_sgpr_dispatch_id 0
		.amdhsa_user_sgpr_private_segment_size 0
		.amdhsa_wavefront_size32 1
		.amdhsa_uses_dynamic_stack 0
		.amdhsa_enable_private_segment 1
		.amdhsa_system_sgpr_workgroup_id_x 1
		.amdhsa_system_sgpr_workgroup_id_y 0
		.amdhsa_system_sgpr_workgroup_id_z 1
		.amdhsa_system_sgpr_workgroup_info 0
		.amdhsa_system_vgpr_workitem_id 0
		.amdhsa_next_free_vgpr 42
		.amdhsa_next_free_sgpr 34
		.amdhsa_reserve_vcc 1
		.amdhsa_float_round_mode_32 0
		.amdhsa_float_round_mode_16_64 0
		.amdhsa_float_denorm_mode_32 3
		.amdhsa_float_denorm_mode_16_64 3
		.amdhsa_dx10_clamp 1
		.amdhsa_ieee_mode 1
		.amdhsa_fp16_overflow 0
		.amdhsa_workgroup_processor_mode 1
		.amdhsa_memory_ordered 1
		.amdhsa_forward_progress 0
		.amdhsa_shared_vgpr_count 0
		.amdhsa_exception_fp_ieee_invalid_op 0
		.amdhsa_exception_fp_denorm_src 0
		.amdhsa_exception_fp_ieee_div_zero 0
		.amdhsa_exception_fp_ieee_overflow 0
		.amdhsa_exception_fp_ieee_underflow 0
		.amdhsa_exception_fp_ieee_inexact 0
		.amdhsa_exception_int_div_zero 0
	.end_amdhsa_kernel
	.text
.Lfunc_end2:
	.size	Transform_S_S_111_16_16_VW_1, .Lfunc_end2-Transform_S_S_111_16_16_VW_1
                                        ; -- End function
	.section	.AMDGPU.csdata,"",@progbits
; Kernel info:
; codeLenInByte = 748
; NumSgprs: 36
; NumVgprs: 42
; ScratchSize: 64
; MemoryBound: 0
; FloatMode: 240
; IeeeMode: 1
; LDSByteSize: 0 bytes/workgroup (compile time only)
; SGPRBlocks: 4
; VGPRBlocks: 5
; NumSGPRsForWavesPerEU: 36
; NumVGPRsForWavesPerEU: 42
; Occupancy: 16
; WaveLimiterHint : 1
; COMPUTE_PGM_RSRC2:SCRATCH_EN: 1
; COMPUTE_PGM_RSRC2:USER_SGPR: 14
; COMPUTE_PGM_RSRC2:TRAP_HANDLER: 0
; COMPUTE_PGM_RSRC2:TGID_X_EN: 1
; COMPUTE_PGM_RSRC2:TGID_Y_EN: 0
; COMPUTE_PGM_RSRC2:TGID_Z_EN: 1
; COMPUTE_PGM_RSRC2:TIDIG_COMP_CNT: 0
	.text
	.protected	Transform_S_S_111_16_16_VW_4 ; -- Begin function Transform_S_S_111_16_16_VW_4
	.globl	Transform_S_S_111_16_16_VW_4
	.p2align	8
	.type	Transform_S_S_111_16_16_VW_4,@function
Transform_S_S_111_16_16_VW_4:           ; @Transform_S_S_111_16_16_VW_4
; %bb.0:
	s_mov_b64 s[22:23], s[0:1]
	s_load_b32 s0, s[0:1], 0x64
	v_mov_b32_e32 v41, v0
	s_mov_b32 s24, s15
	s_mov_b32 s21, s14
	;; [unrolled: 1-line block ×3, first 2 shown]
	s_waitcnt lgkmcnt(0)
	v_cmp_eq_u16_e64 s0, 0x100, s0
	s_delay_alu instid0(VALU_DEP_1)
	s_and_b32 vcc_lo, exec_lo, s0
	s_mov_b32 s0, -1
	s_cbranch_vccnz .LBB3_2
; %bb.1:
	s_add_u32 s8, s22, 0x58
	s_addc_u32 s9, s23, 0
	s_getpc_b64 s[0:1]
	s_add_u32 s0, s0, __PRETTY_FUNCTION__._ZN10amd_detail9transformIffLb1ELb1ELb1ELj16ELj16ELj4EEEvPT_PKS1_S4_T0_PKS5_S5_S7_jjjjjjbb@rel32@lo+4
	s_addc_u32 s1, s1, __PRETTY_FUNCTION__._ZN10amd_detail9transformIffLb1ELb1ELb1ELj16ELj16ELj4EEEvPT_PKS1_S4_T0_PKS5_S5_S7_jjjjjjbb@rel32@hi+12
	s_delay_alu instid0(SALU_CYCLE_1) | instskip(SKIP_3) | instid1(SALU_CYCLE_1)
	v_dual_mov_b32 v0, s0 :: v_dual_mov_b32 v1, s1
	s_getpc_b64 s[2:3]
	s_add_u32 s2, s2, __assert_fail@rel32@lo+4
	s_addc_u32 s3, s3, __assert_fail@rel32@hi+12
	s_swappc_b64 s[30:31], s[2:3]
	; divergent unreachable
	s_mov_b32 s0, 0
.LBB3_2:
	s_delay_alu instid0(SALU_CYCLE_1)
	s_and_not1_b32 vcc_lo, exec_lo, s0
	s_cbranch_vccnz .LBB3_55
; %bb.3:
	s_load_b128 s[0:3], s[22:23], 0x38
	s_waitcnt lgkmcnt(0)
	s_and_b32 s4, s0, 15
	s_lshr_b32 s5, s0, 4
	s_cmp_lg_u32 s4, 0
	s_cselect_b32 s4, -1, 0
	s_delay_alu instid0(SALU_CYCLE_1) | instskip(SKIP_4) | instid1(VALU_DEP_1)
	s_cmp_lg_u32 s4, 0
	s_addc_u32 s6, s5, 0
	s_load_b64 s[4:5], s[22:23], 0x20
	v_cvt_f32_u32_e32 v0, s6
	s_sub_i32 s8, 0, s6
	v_rcp_iflag_f32_e32 v0, v0
	s_waitcnt_depctr 0xfff
	v_mul_f32_e32 v0, 0x4f7ffffe, v0
	s_delay_alu instid0(VALU_DEP_1) | instskip(NEXT) | instid1(VALU_DEP_1)
	v_cvt_u32_f32_e32 v0, v0
	v_readfirstlane_b32 s7, v0
	s_delay_alu instid0(VALU_DEP_1) | instskip(NEXT) | instid1(SALU_CYCLE_1)
	s_mul_i32 s8, s8, s7
	s_mul_hi_u32 s8, s7, s8
	s_delay_alu instid0(SALU_CYCLE_1)
	s_add_i32 s7, s7, s8
	s_waitcnt lgkmcnt(0)
	s_cmp_eq_u64 s[4:5], 0
	s_mul_hi_u32 s7, s21, s7
	s_cbranch_scc1 .LBB3_6
; %bb.4:
	s_load_b32 s15, s[4:5], 0x0
	s_load_b64 s[4:5], s[22:23], 0x30
	s_waitcnt lgkmcnt(0)
	s_cmp_eq_u64 s[4:5], 0
	s_cbranch_scc1 .LBB3_7
.LBB3_5:
	s_load_b32 s16, s[4:5], 0x0
	s_branch .LBB3_8
.LBB3_6:
	s_clause 0x1
	s_load_b32 s15, s[22:23], 0x18
	s_load_b64 s[4:5], s[22:23], 0x30
	s_waitcnt lgkmcnt(0)
	s_cmp_eq_u64 s[4:5], 0
	s_cbranch_scc0 .LBB3_5
.LBB3_7:
	s_load_b32 s16, s[22:23], 0x28
.LBB3_8:
	s_mul_i32 s4, s7, s6
	s_add_i32 s5, s7, 1
	s_sub_i32 s4, s21, s4
	v_and_b32_e32 v10, 15, v41
	s_sub_i32 s8, s4, s6
	s_cmp_ge_u32 s4, s6
	s_cselect_b32 s5, s5, s7
	s_cselect_b32 s4, s8, s4
	s_add_i32 s7, s5, 1
	s_cmp_ge_u32 s4, s6
	s_cselect_b32 s12, s7, s5
	s_delay_alu instid0(SALU_CYCLE_1) | instskip(NEXT) | instid1(SALU_CYCLE_1)
	s_mul_i32 s14, s12, s6
	s_sub_i32 s4, s21, s14
	s_delay_alu instid0(SALU_CYCLE_1) | instskip(NEXT) | instid1(VALU_DEP_1)
	v_lshl_or_b32 v0, s4, 4, v10
	v_cmp_gt_u32_e32 vcc_lo, s0, v0
	s_and_saveexec_b32 s0, vcc_lo
	s_cbranch_execz .LBB3_55
; %bb.9:
	v_lshrrev_b32_e32 v1, 2, v41
	s_clause 0x1
	s_load_b128 s[8:11], s[22:23], 0x48
	s_load_b128 s[4:7], s[22:23], 0x0
	s_waitcnt lgkmcnt(0)
	s_lshl_b32 s11, s12, 6
	s_load_b64 s[12:13], s[22:23], 0x10
	v_dual_mov_b32 v4, 0 :: v_dual_and_b32 v11, 0xfc, v1
	v_mov_b32_e32 v3, 0
	s_delay_alu instid0(VALU_DEP_2) | instskip(NEXT) | instid1(VALU_DEP_1)
	v_add_nc_u32_e32 v9, s11, v11
	v_add_nc_u32_e32 v12, 4, v9
	v_mad_u64_u32 v[1:2], null, v0, s2, v[9:10]
	s_bitcmp1_b32 s10, 0
	s_delay_alu instid0(VALU_DEP_2) | instskip(SKIP_4) | instid1(VALU_DEP_2)
	v_sub_nc_u32_e64 v13, v12, s1 clamp
	s_cselect_b32 vcc_lo, -1, 0
	s_cmp_lg_u64 s[6:7], 0
	s_mul_i32 s24, s24, s9
	s_cselect_b32 s10, -1, 0
	v_sub_nc_u32_e32 v7, v1, v13
	v_sub_nc_u32_e32 v5, v9, v13
	s_cmp_eq_u64 s[6:7], 0
	s_cbranch_scc1 .LBB3_11
; %bb.10:
	s_delay_alu instid0(VALU_DEP_1) | instskip(NEXT) | instid1(VALU_DEP_1)
	v_mad_u64_u32 v[1:2], null, v5, s2, v[0:1]
	v_dual_mov_b32 v2, 0 :: v_dual_cndmask_b32 v1, v7, v1
	s_delay_alu instid0(VALU_DEP_1) | instskip(NEXT) | instid1(VALU_DEP_1)
	v_add_nc_u32_e32 v1, s24, v1
	v_lshlrev_b64 v[1:2], 2, v[1:2]
	s_delay_alu instid0(VALU_DEP_1) | instskip(NEXT) | instid1(VALU_DEP_1)
	v_add_co_u32 v1, s0, s6, v1
	v_add_co_ci_u32_e64 v2, s0, s7, v2, s0
	global_load_b32 v3, v[1:2], off
.LBB3_11:
	s_load_b32 s0, s[22:23], 0x50
	v_mad_u64_u32 v[1:2], null, v0, s3, v[9:10]
	v_mul_lo_u32 v6, v5, s3
	s_xor_b32 s17, vcc_lo, -1
	s_delay_alu instid0(VALU_DEP_2)
	v_sub_nc_u32_e32 v8, v1, v13
	s_waitcnt lgkmcnt(0)
	s_bitcmp1_b32 s0, 8
	s_cselect_b32 s0, -1, 0
	s_cmp_lg_u64 s[12:13], 0
	s_cselect_b32 s9, -1, 0
	s_cmp_eq_u64 s[12:13], 0
	s_cbranch_scc1 .LBB3_13
; %bb.12:
	v_dual_mov_b32 v2, 0 :: v_dual_add_nc_u32 v1, v6, v0
	s_delay_alu instid0(VALU_DEP_1) | instskip(NEXT) | instid1(VALU_DEP_1)
	v_cndmask_b32_e64 v1, v8, v1, s0
	v_add_nc_u32_e32 v1, s24, v1
	s_delay_alu instid0(VALU_DEP_1) | instskip(NEXT) | instid1(VALU_DEP_1)
	v_lshlrev_b64 v[1:2], 2, v[1:2]
	v_add_co_u32 v1, vcc_lo, s12, v1
	s_delay_alu instid0(VALU_DEP_2)
	v_add_co_ci_u32_e32 v2, vcc_lo, s13, v2, vcc_lo
	global_load_b32 v4, v[1:2], off
.LBB3_13:
	v_cndmask_b32_e64 v16, 0, 1, s17
	s_and_not1_b32 vcc_lo, exec_lo, s17
	s_cbranch_vccnz .LBB3_15
; %bb.14:
	v_add_nc_u32_e32 v1, 1, v7
	s_xor_b32 s0, s0, -1
	s_cbranch_execz .LBB3_16
	s_branch .LBB3_17
.LBB3_15:
                                        ; implicit-def: $vgpr1
	s_xor_b32 s0, s0, -1
.LBB3_16:
	v_mul_lo_u32 v1, s2, v5
	s_delay_alu instid0(VALU_DEP_1)
	v_add3_u32 v1, v1, s2, v0
.LBB3_17:
	v_cndmask_b32_e64 v17, 0, 1, s0
	s_and_not1_b32 vcc_lo, exec_lo, s0
	s_cbranch_vccnz .LBB3_19
; %bb.18:
	v_add_nc_u32_e32 v2, 1, v8
	s_cbranch_execz .LBB3_20
	s_branch .LBB3_21
.LBB3_19:
                                        ; implicit-def: $vgpr2
.LBB3_20:
	v_add3_u32 v2, v6, s3, v0
.LBB3_21:
	v_cndmask_b32_e64 v18, 0, 1, s10
	v_dual_mov_b32 v15, 0 :: v_dual_mov_b32 v14, 0
	s_and_not1_b32 vcc_lo, exec_lo, s10
	s_cbranch_vccnz .LBB3_23
; %bb.22:
	v_dual_mov_b32 v20, 0 :: v_dual_add_nc_u32 v19, s24, v1
	s_delay_alu instid0(VALU_DEP_1) | instskip(NEXT) | instid1(VALU_DEP_1)
	v_lshlrev_b64 v[19:20], 2, v[19:20]
	v_add_co_u32 v19, vcc_lo, s6, v19
	s_delay_alu instid0(VALU_DEP_2)
	v_add_co_ci_u32_e32 v20, vcc_lo, s7, v20, vcc_lo
	global_load_b32 v14, v[19:20], off
.LBB3_23:
	v_cndmask_b32_e64 v19, 0, 1, s9
	s_and_not1_b32 vcc_lo, exec_lo, s9
	s_cbranch_vccnz .LBB3_25
; %bb.24:
	v_dual_mov_b32 v2, 0 :: v_dual_add_nc_u32 v1, s24, v2
	s_delay_alu instid0(VALU_DEP_1) | instskip(NEXT) | instid1(VALU_DEP_1)
	v_lshlrev_b64 v[1:2], 2, v[1:2]
	v_add_co_u32 v1, vcc_lo, s12, v1
	s_delay_alu instid0(VALU_DEP_2)
	v_add_co_ci_u32_e32 v2, vcc_lo, s13, v2, vcc_lo
	global_load_b32 v15, v[1:2], off
.LBB3_25:
	v_cmp_ne_u32_e32 vcc_lo, 1, v16
	s_cbranch_vccnz .LBB3_27
; %bb.26:
	v_add_nc_u32_e32 v1, 2, v7
	s_cbranch_execz .LBB3_28
	s_branch .LBB3_29
.LBB3_27:
                                        ; implicit-def: $vgpr1
.LBB3_28:
	v_add_nc_u32_e32 v20, 2, v5
	s_delay_alu instid0(VALU_DEP_1)
	v_mad_u64_u32 v[1:2], null, v20, s2, v[0:1]
.LBB3_29:
	v_cmp_ne_u32_e32 vcc_lo, 1, v17
	s_cbranch_vccnz .LBB3_31
; %bb.30:
	v_add_nc_u32_e32 v2, 2, v8
	s_cbranch_execz .LBB3_32
	s_branch .LBB3_33
.LBB3_31:
                                        ; implicit-def: $vgpr2
.LBB3_32:
	s_lshl_b32 s0, s3, 1
	s_delay_alu instid0(SALU_CYCLE_1)
	v_add3_u32 v2, v6, s0, v0
.LBB3_33:
	v_cmp_ne_u32_e32 vcc_lo, 1, v18
	v_dual_mov_b32 v21, 0 :: v_dual_mov_b32 v20, 0
	s_cbranch_vccnz .LBB3_35
; %bb.34:
	v_dual_mov_b32 v23, 0 :: v_dual_add_nc_u32 v22, s24, v1
	s_delay_alu instid0(VALU_DEP_1) | instskip(NEXT) | instid1(VALU_DEP_1)
	v_lshlrev_b64 v[22:23], 2, v[22:23]
	v_add_co_u32 v22, vcc_lo, s6, v22
	s_delay_alu instid0(VALU_DEP_2)
	v_add_co_ci_u32_e32 v23, vcc_lo, s7, v23, vcc_lo
	global_load_b32 v20, v[22:23], off
.LBB3_35:
	v_cmp_ne_u32_e32 vcc_lo, 1, v19
	s_cbranch_vccnz .LBB3_37
; %bb.36:
	v_dual_mov_b32 v2, 0 :: v_dual_add_nc_u32 v1, s24, v2
	s_delay_alu instid0(VALU_DEP_1) | instskip(NEXT) | instid1(VALU_DEP_1)
	v_lshlrev_b64 v[1:2], 2, v[1:2]
	v_add_co_u32 v1, vcc_lo, s12, v1
	s_delay_alu instid0(VALU_DEP_2)
	v_add_co_ci_u32_e32 v2, vcc_lo, s13, v2, vcc_lo
	global_load_b32 v21, v[1:2], off
.LBB3_37:
	v_cmp_ne_u32_e32 vcc_lo, 1, v16
	s_cbranch_vccnz .LBB3_39
; %bb.38:
	v_add_nc_u32_e32 v1, 3, v7
	s_cbranch_execz .LBB3_40
	s_branch .LBB3_41
.LBB3_39:
                                        ; implicit-def: $vgpr1
.LBB3_40:
	v_add_nc_u32_e32 v5, 3, v5
	s_delay_alu instid0(VALU_DEP_1)
	v_mad_u64_u32 v[1:2], null, v5, s2, v[0:1]
.LBB3_41:
	v_cmp_ne_u32_e32 vcc_lo, 1, v17
	s_cbranch_vccnz .LBB3_43
; %bb.42:
	v_add_nc_u32_e32 v2, 3, v8
	s_cbranch_execz .LBB3_44
	s_branch .LBB3_45
.LBB3_43:
                                        ; implicit-def: $vgpr2
.LBB3_44:
	s_mul_i32 s0, s3, 3
	s_delay_alu instid0(SALU_CYCLE_1)
	v_add3_u32 v2, v6, s0, v0
.LBB3_45:
	v_cmp_ne_u32_e32 vcc_lo, 1, v18
	v_dual_mov_b32 v6, 0 :: v_dual_mov_b32 v5, 0
	s_cbranch_vccnz .LBB3_47
; %bb.46:
	v_dual_mov_b32 v8, 0 :: v_dual_add_nc_u32 v7, s24, v1
	s_delay_alu instid0(VALU_DEP_1) | instskip(NEXT) | instid1(VALU_DEP_1)
	v_lshlrev_b64 v[7:8], 2, v[7:8]
	v_add_co_u32 v7, vcc_lo, s6, v7
	s_delay_alu instid0(VALU_DEP_2)
	v_add_co_ci_u32_e32 v8, vcc_lo, s7, v8, vcc_lo
	global_load_b32 v5, v[7:8], off
.LBB3_47:
	v_cmp_ne_u32_e32 vcc_lo, 1, v19
	s_cbranch_vccnz .LBB3_49
; %bb.48:
	v_dual_mov_b32 v2, 0 :: v_dual_add_nc_u32 v1, s24, v2
	s_delay_alu instid0(VALU_DEP_1) | instskip(NEXT) | instid1(VALU_DEP_1)
	v_lshlrev_b64 v[1:2], 2, v[1:2]
	v_add_co_u32 v1, vcc_lo, s12, v1
	s_delay_alu instid0(VALU_DEP_2)
	v_add_co_ci_u32_e32 v2, vcc_lo, s13, v2, vcc_lo
	global_load_b32 v6, v[1:2], off
.LBB3_49:
	s_waitcnt vmcnt(0)
	v_dual_mul_f32 v16, s16, v4 :: v_dual_mul_f32 v1, s16, v15
	v_mul_f32_e32 v4, s16, v21
	v_mul_f32_e32 v8, s16, v6
	s_mov_b32 s0, exec_lo
	s_delay_alu instid0(VALU_DEP_3) | instskip(NEXT) | instid1(VALU_DEP_3)
	v_dual_fmac_f32 v16, s15, v3 :: v_dual_fmac_f32 v1, s15, v14
	v_fmac_f32_e32 v4, s15, v20
	s_delay_alu instid0(VALU_DEP_3)
	v_fmac_f32_e32 v8, s15, v5
	v_cmpx_ge_u32_e64 s1, v12
	s_xor_b32 s0, exec_lo, s0
	s_cbranch_execz .LBB3_51
; %bb.50:
	v_mul_lo_u32 v0, v0, s8
	s_delay_alu instid0(VALU_DEP_1) | instskip(NEXT) | instid1(VALU_DEP_1)
	v_add3_u32 v0, v9, s24, v0
	v_sub_nc_u32_e32 v2, v0, v13
	v_mov_b32_e32 v3, 0
                                        ; implicit-def: $vgpr13
	s_delay_alu instid0(VALU_DEP_2) | instskip(NEXT) | instid1(VALU_DEP_2)
	v_add_nc_u32_e32 v5, 1, v2
	v_lshlrev_b64 v[11:12], 2, v[2:3]
	v_add_nc_u32_e32 v9, 2, v2
	v_add_nc_u32_e32 v2, 3, v2
	v_mov_b32_e32 v6, v3
	v_mov_b32_e32 v10, v3
	v_add_co_u32 v11, vcc_lo, s4, v11
	s_delay_alu instid0(VALU_DEP_3) | instskip(NEXT) | instid1(VALU_DEP_3)
	v_lshlrev_b64 v[5:6], 2, v[5:6]
	v_lshlrev_b64 v[9:10], 2, v[9:10]
	v_add_co_ci_u32_e32 v12, vcc_lo, s5, v12, vcc_lo
	v_lshlrev_b64 v[2:3], 2, v[2:3]
	s_delay_alu instid0(VALU_DEP_4)
	v_add_co_u32 v5, vcc_lo, s4, v5
	v_add_co_ci_u32_e32 v6, vcc_lo, s5, v6, vcc_lo
	v_add_co_u32 v9, vcc_lo, s4, v9
	v_add_co_ci_u32_e32 v10, vcc_lo, s5, v10, vcc_lo
	;; [unrolled: 2-line block ×3, first 2 shown]
	s_clause 0x3
	global_store_b32 v[11:12], v16, off
	global_store_b32 v[5:6], v1, off
	;; [unrolled: 1-line block ×4, first 2 shown]
                                        ; implicit-def: $vgpr0_vgpr1_vgpr2_vgpr3
                                        ; implicit-def: $vgpr2_vgpr3_vgpr4_vgpr5
                                        ; implicit-def: $vgpr10
                                        ; implicit-def: $vgpr11
                                        ; implicit-def: $vgpr9
                                        ; implicit-def: $vgpr12
                                        ; implicit-def: $vgpr16
                                        ; implicit-def: $vgpr5_vgpr6_vgpr7_vgpr8
.LBB3_51:
	s_and_not1_saveexec_b32 s0, s0
	s_cbranch_execz .LBB3_55
; %bb.52:
	v_cmp_gt_u32_e32 vcc_lo, 4, v13
	s_and_b32 exec_lo, exec_lo, vcc_lo
	s_cbranch_execz .LBB3_55
; %bb.53:
	v_lshl_or_b32 v0, s21, 4, v10
	s_lshl_b32 s0, s14, 4
	v_min_u32_e32 v2, s1, v12
	s_add_i32 s11, s11, s24
	s_mov_b32 s1, 0
	v_subrev_nc_u32_e32 v0, s0, v0
	s_delay_alu instid0(VALU_DEP_1) | instskip(SKIP_1) | instid1(VALU_DEP_1)
	v_mul_lo_u32 v3, s8, v0
	v_sub_nc_u32_e32 v0, v9, v2
	v_add_nc_u32_e32 v0, 3, v0
	s_delay_alu instid0(VALU_DEP_3)
	v_add3_u32 v2, s11, v3, v11
	v_mov_b32_e32 v3, 0
	.p2align	6
.LBB3_54:                               ; =>This Inner Loop Header: Depth=1
	s_delay_alu instid0(VALU_DEP_3) | instskip(NEXT) | instid1(VALU_DEP_2)
	v_add_nc_u32_e32 v0, 1, v0
	v_lshlrev_b64 v[5:6], 2, v[2:3]
	v_add_nc_u32_e32 v2, 1, v2
	s_delay_alu instid0(VALU_DEP_3) | instskip(SKIP_3) | instid1(VALU_DEP_2)
	v_cmp_eq_u32_e32 vcc_lo, 1, v0
	v_cndmask_b32_e32 v7, v16, v1, vcc_lo
	v_cmp_eq_u32_e64 s0, 2, v0
	v_cmp_lt_u32_e32 vcc_lo, 2, v0
	v_cndmask_b32_e64 v7, v7, v4, s0
	v_add_co_u32 v5, s0, s4, v5
	s_delay_alu instid0(VALU_DEP_1) | instskip(SKIP_2) | instid1(VALU_DEP_1)
	v_add_co_ci_u32_e64 v6, s0, s5, v6, s0
	v_cmp_eq_u32_e64 s0, 3, v0
	s_or_b32 s1, vcc_lo, s1
	v_cndmask_b32_e64 v7, v7, v8, s0
	global_store_b32 v[5:6], v7, off
	s_and_not1_b32 exec_lo, exec_lo, s1
	s_cbranch_execnz .LBB3_54
.LBB3_55:
	s_endpgm
	.section	.rodata,"a",@progbits
	.p2align	6, 0x0
	.amdhsa_kernel Transform_S_S_111_16_16_VW_4
		.amdhsa_group_segment_fixed_size 0
		.amdhsa_private_segment_fixed_size 64
		.amdhsa_kernarg_size 344
		.amdhsa_user_sgpr_count 14
		.amdhsa_user_sgpr_dispatch_ptr 0
		.amdhsa_user_sgpr_queue_ptr 0
		.amdhsa_user_sgpr_kernarg_segment_ptr 1
		.amdhsa_user_sgpr_dispatch_id 0
		.amdhsa_user_sgpr_private_segment_size 0
		.amdhsa_wavefront_size32 1
		.amdhsa_uses_dynamic_stack 0
		.amdhsa_enable_private_segment 1
		.amdhsa_system_sgpr_workgroup_id_x 1
		.amdhsa_system_sgpr_workgroup_id_y 0
		.amdhsa_system_sgpr_workgroup_id_z 1
		.amdhsa_system_sgpr_workgroup_info 0
		.amdhsa_system_vgpr_workitem_id 0
		.amdhsa_next_free_vgpr 42
		.amdhsa_next_free_sgpr 34
		.amdhsa_reserve_vcc 1
		.amdhsa_float_round_mode_32 0
		.amdhsa_float_round_mode_16_64 0
		.amdhsa_float_denorm_mode_32 3
		.amdhsa_float_denorm_mode_16_64 3
		.amdhsa_dx10_clamp 1
		.amdhsa_ieee_mode 1
		.amdhsa_fp16_overflow 0
		.amdhsa_workgroup_processor_mode 1
		.amdhsa_memory_ordered 1
		.amdhsa_forward_progress 0
		.amdhsa_shared_vgpr_count 0
		.amdhsa_exception_fp_ieee_invalid_op 0
		.amdhsa_exception_fp_denorm_src 0
		.amdhsa_exception_fp_ieee_div_zero 0
		.amdhsa_exception_fp_ieee_overflow 0
		.amdhsa_exception_fp_ieee_underflow 0
		.amdhsa_exception_fp_ieee_inexact 0
		.amdhsa_exception_int_div_zero 0
	.end_amdhsa_kernel
	.text
.Lfunc_end3:
	.size	Transform_S_S_111_16_16_VW_4, .Lfunc_end3-Transform_S_S_111_16_16_VW_4
                                        ; -- End function
	.section	.AMDGPU.csdata,"",@progbits
; Kernel info:
; codeLenInByte = 1760
; NumSgprs: 36
; NumVgprs: 42
; ScratchSize: 64
; MemoryBound: 0
; FloatMode: 240
; IeeeMode: 1
; LDSByteSize: 0 bytes/workgroup (compile time only)
; SGPRBlocks: 4
; VGPRBlocks: 5
; NumSGPRsForWavesPerEU: 36
; NumVGPRsForWavesPerEU: 42
; Occupancy: 16
; WaveLimiterHint : 1
; COMPUTE_PGM_RSRC2:SCRATCH_EN: 1
; COMPUTE_PGM_RSRC2:USER_SGPR: 14
; COMPUTE_PGM_RSRC2:TRAP_HANDLER: 0
; COMPUTE_PGM_RSRC2:TGID_X_EN: 1
; COMPUTE_PGM_RSRC2:TGID_Y_EN: 0
; COMPUTE_PGM_RSRC2:TGID_Z_EN: 1
; COMPUTE_PGM_RSRC2:TIDIG_COMP_CNT: 0
	.text
	.protected	Transform_S_S_110_16_16_VW_1 ; -- Begin function Transform_S_S_110_16_16_VW_1
	.globl	Transform_S_S_110_16_16_VW_1
	.p2align	8
	.type	Transform_S_S_110_16_16_VW_1,@function
Transform_S_S_110_16_16_VW_1:           ; @Transform_S_S_110_16_16_VW_1
; %bb.0:
	s_mov_b64 s[22:23], s[0:1]
	s_load_b32 s0, s[0:1], 0x64
	v_mov_b32_e32 v41, v0
	s_mov_b32 s21, s15
	s_mov_b32 s24, s14
	;; [unrolled: 1-line block ×3, first 2 shown]
	s_waitcnt lgkmcnt(0)
	v_cmp_eq_u16_e64 s0, 0x100, s0
	s_delay_alu instid0(VALU_DEP_1)
	s_and_b32 vcc_lo, exec_lo, s0
	s_mov_b32 s0, -1
	s_cbranch_vccnz .LBB4_2
; %bb.1:
	s_add_u32 s8, s22, 0x58
	s_addc_u32 s9, s23, 0
	s_getpc_b64 s[0:1]
	s_add_u32 s0, s0, __PRETTY_FUNCTION__._ZN10amd_detail9transformIffLb1ELb1ELb0ELj16ELj16ELj1EEEvPT_PKS1_S4_T0_PKS5_S5_S7_jjjjjjbb@rel32@lo+4
	s_addc_u32 s1, s1, __PRETTY_FUNCTION__._ZN10amd_detail9transformIffLb1ELb1ELb0ELj16ELj16ELj1EEEvPT_PKS1_S4_T0_PKS5_S5_S7_jjjjjjbb@rel32@hi+12
	s_delay_alu instid0(SALU_CYCLE_1) | instskip(SKIP_3) | instid1(SALU_CYCLE_1)
	v_dual_mov_b32 v0, s0 :: v_dual_mov_b32 v1, s1
	s_getpc_b64 s[2:3]
	s_add_u32 s2, s2, __assert_fail@rel32@lo+4
	s_addc_u32 s3, s3, __assert_fail@rel32@hi+12
	s_swappc_b64 s[30:31], s[2:3]
	; divergent unreachable
	s_mov_b32 s0, 0
.LBB4_2:
	s_delay_alu instid0(SALU_CYCLE_1)
	s_and_not1_b32 vcc_lo, exec_lo, s0
	s_cbranch_vccnz .LBB4_14
; %bb.3:
	s_load_b256 s[0:7], s[22:23], 0x38
	s_waitcnt lgkmcnt(0)
	s_and_b32 s7, s0, 15
	s_lshr_b32 s8, s0, 4
	s_cmp_lg_u32 s7, 0
	s_cselect_b32 s7, -1, 0
	s_delay_alu instid0(SALU_CYCLE_1) | instskip(SKIP_4) | instid1(VALU_DEP_1)
	s_cmp_lg_u32 s7, 0
	s_addc_u32 s10, s8, 0
	s_load_b64 s[8:9], s[22:23], 0x20
	v_cvt_f32_u32_e32 v0, s10
	s_sub_i32 s11, 0, s10
	v_rcp_iflag_f32_e32 v0, v0
	s_waitcnt_depctr 0xfff
	v_mul_f32_e32 v0, 0x4f7ffffe, v0
	s_delay_alu instid0(VALU_DEP_1) | instskip(NEXT) | instid1(VALU_DEP_1)
	v_cvt_u32_f32_e32 v0, v0
	v_readfirstlane_b32 s7, v0
	s_delay_alu instid0(VALU_DEP_1) | instskip(NEXT) | instid1(SALU_CYCLE_1)
	s_mul_i32 s11, s11, s7
	s_mul_hi_u32 s11, s7, s11
	s_delay_alu instid0(SALU_CYCLE_1)
	s_add_i32 s7, s7, s11
	s_waitcnt lgkmcnt(0)
	s_cmp_eq_u64 s[8:9], 0
	s_mul_hi_u32 s11, s24, s7
	s_cbranch_scc1 .LBB4_6
; %bb.4:
	s_load_b32 s7, s[8:9], 0x0
	s_load_b64 s[8:9], s[22:23], 0x30
	s_waitcnt lgkmcnt(0)
	s_cmp_eq_u64 s[8:9], 0
	s_cbranch_scc1 .LBB4_7
.LBB4_5:
	s_load_b32 s12, s[8:9], 0x0
	s_branch .LBB4_8
.LBB4_6:
	s_clause 0x1
	s_load_b32 s7, s[22:23], 0x18
	s_load_b64 s[8:9], s[22:23], 0x30
	s_waitcnt lgkmcnt(0)
	s_cmp_eq_u64 s[8:9], 0
	s_cbranch_scc0 .LBB4_5
.LBB4_7:
	s_load_b32 s12, s[22:23], 0x28
.LBB4_8:
	s_mul_i32 s8, s11, s10
	s_add_i32 s9, s11, 1
	s_sub_i32 s8, s24, s8
	v_and_b32_e32 v0, 15, v41
	s_sub_i32 s13, s8, s10
	s_cmp_ge_u32 s8, s10
	v_lshrrev_b32_e32 v1, 4, v41
	s_cselect_b32 s9, s9, s11
	s_cselect_b32 s8, s13, s8
	s_add_i32 s11, s9, 1
	s_cmp_ge_u32 s8, s10
	s_cselect_b32 s8, s11, s9
	s_delay_alu instid0(SALU_CYCLE_1) | instskip(SKIP_2) | instid1(SALU_CYCLE_1)
	s_mul_i32 s9, s8, s10
	v_lshl_add_u32 v1, s8, 4, v1
	s_sub_i32 s9, s24, s9
	v_lshl_or_b32 v0, s9, 4, v0
	s_delay_alu instid0(VALU_DEP_1) | instskip(NEXT) | instid1(VALU_DEP_3)
	v_cmp_gt_u32_e32 vcc_lo, s0, v0
	v_cmp_gt_u32_e64 s0, s1, v1
	s_delay_alu instid0(VALU_DEP_1) | instskip(NEXT) | instid1(SALU_CYCLE_1)
	s_and_b32 s0, vcc_lo, s0
	s_and_saveexec_b32 s1, s0
	s_cbranch_execz .LBB4_14
; %bb.9:
	s_clause 0x1
	s_load_b128 s[8:11], s[22:23], 0x0
	s_load_b64 s[0:1], s[22:23], 0x10
	v_dual_mov_b32 v3, 0 :: v_dual_mov_b32 v2, 0
	s_mul_i32 s21, s21, s5
	s_waitcnt lgkmcnt(0)
	s_cmp_eq_u64 s[10:11], 0
	s_cbranch_scc1 .LBB4_11
; %bb.10:
	s_bitcmp1_b32 s6, 0
	v_mov_b32_e32 v5, 0
	s_cselect_b32 vcc_lo, -1, 0
	v_cndmask_b32_e32 v2, v0, v1, vcc_lo
	v_cndmask_b32_e32 v4, v1, v0, vcc_lo
	s_delay_alu instid0(VALU_DEP_2) | instskip(NEXT) | instid1(VALU_DEP_1)
	v_mul_lo_u32 v2, v2, s2
	v_add3_u32 v4, v4, s21, v2
	s_delay_alu instid0(VALU_DEP_1) | instskip(NEXT) | instid1(VALU_DEP_1)
	v_lshlrev_b64 v[4:5], 2, v[4:5]
	v_add_co_u32 v4, vcc_lo, s10, v4
	s_delay_alu instid0(VALU_DEP_2)
	v_add_co_ci_u32_e32 v5, vcc_lo, s11, v5, vcc_lo
	global_load_b32 v2, v[4:5], off
.LBB4_11:
	s_cmp_eq_u64 s[0:1], 0
	s_cbranch_scc1 .LBB4_13
; %bb.12:
	s_load_b32 s2, s[22:23], 0x50
	v_mov_b32_e32 v4, 0
	s_waitcnt lgkmcnt(0)
	s_bitcmp1_b32 s2, 8
	s_cselect_b32 vcc_lo, -1, 0
	v_cndmask_b32_e32 v3, v0, v1, vcc_lo
	v_cndmask_b32_e32 v5, v1, v0, vcc_lo
	s_delay_alu instid0(VALU_DEP_2) | instskip(NEXT) | instid1(VALU_DEP_1)
	v_mul_lo_u32 v3, v3, s3
	v_add3_u32 v3, v5, s21, v3
	s_delay_alu instid0(VALU_DEP_1) | instskip(NEXT) | instid1(VALU_DEP_1)
	v_lshlrev_b64 v[3:4], 2, v[3:4]
	v_add_co_u32 v3, vcc_lo, s0, v3
	s_delay_alu instid0(VALU_DEP_2)
	v_add_co_ci_u32_e32 v4, vcc_lo, s1, v4, vcc_lo
	global_load_b32 v3, v[3:4], off
.LBB4_13:
	v_mul_lo_u32 v4, v1, s4
	v_mov_b32_e32 v1, 0
	s_waitcnt vmcnt(0)
	v_mul_f32_e32 v3, s12, v3
	s_delay_alu instid0(VALU_DEP_1) | instskip(NEXT) | instid1(VALU_DEP_4)
	v_fmac_f32_e32 v3, s7, v2
	v_add3_u32 v0, v0, s21, v4
	s_delay_alu instid0(VALU_DEP_1) | instskip(NEXT) | instid1(VALU_DEP_1)
	v_lshlrev_b64 v[0:1], 2, v[0:1]
	v_add_co_u32 v0, vcc_lo, s8, v0
	s_delay_alu instid0(VALU_DEP_2)
	v_add_co_ci_u32_e32 v1, vcc_lo, s9, v1, vcc_lo
	global_store_b32 v[0:1], v3, off
.LBB4_14:
	s_endpgm
	.section	.rodata,"a",@progbits
	.p2align	6, 0x0
	.amdhsa_kernel Transform_S_S_110_16_16_VW_1
		.amdhsa_group_segment_fixed_size 0
		.amdhsa_private_segment_fixed_size 64
		.amdhsa_kernarg_size 344
		.amdhsa_user_sgpr_count 14
		.amdhsa_user_sgpr_dispatch_ptr 0
		.amdhsa_user_sgpr_queue_ptr 0
		.amdhsa_user_sgpr_kernarg_segment_ptr 1
		.amdhsa_user_sgpr_dispatch_id 0
		.amdhsa_user_sgpr_private_segment_size 0
		.amdhsa_wavefront_size32 1
		.amdhsa_uses_dynamic_stack 0
		.amdhsa_enable_private_segment 1
		.amdhsa_system_sgpr_workgroup_id_x 1
		.amdhsa_system_sgpr_workgroup_id_y 0
		.amdhsa_system_sgpr_workgroup_id_z 1
		.amdhsa_system_sgpr_workgroup_info 0
		.amdhsa_system_vgpr_workitem_id 0
		.amdhsa_next_free_vgpr 42
		.amdhsa_next_free_sgpr 34
		.amdhsa_reserve_vcc 1
		.amdhsa_float_round_mode_32 0
		.amdhsa_float_round_mode_16_64 0
		.amdhsa_float_denorm_mode_32 3
		.amdhsa_float_denorm_mode_16_64 3
		.amdhsa_dx10_clamp 1
		.amdhsa_ieee_mode 1
		.amdhsa_fp16_overflow 0
		.amdhsa_workgroup_processor_mode 1
		.amdhsa_memory_ordered 1
		.amdhsa_forward_progress 0
		.amdhsa_shared_vgpr_count 0
		.amdhsa_exception_fp_ieee_invalid_op 0
		.amdhsa_exception_fp_denorm_src 0
		.amdhsa_exception_fp_ieee_div_zero 0
		.amdhsa_exception_fp_ieee_overflow 0
		.amdhsa_exception_fp_ieee_underflow 0
		.amdhsa_exception_fp_ieee_inexact 0
		.amdhsa_exception_int_div_zero 0
	.end_amdhsa_kernel
	.text
.Lfunc_end4:
	.size	Transform_S_S_110_16_16_VW_1, .Lfunc_end4-Transform_S_S_110_16_16_VW_1
                                        ; -- End function
	.section	.AMDGPU.csdata,"",@progbits
; Kernel info:
; codeLenInByte = 744
; NumSgprs: 36
; NumVgprs: 42
; ScratchSize: 64
; MemoryBound: 0
; FloatMode: 240
; IeeeMode: 1
; LDSByteSize: 0 bytes/workgroup (compile time only)
; SGPRBlocks: 4
; VGPRBlocks: 5
; NumSGPRsForWavesPerEU: 36
; NumVGPRsForWavesPerEU: 42
; Occupancy: 16
; WaveLimiterHint : 1
; COMPUTE_PGM_RSRC2:SCRATCH_EN: 1
; COMPUTE_PGM_RSRC2:USER_SGPR: 14
; COMPUTE_PGM_RSRC2:TRAP_HANDLER: 0
; COMPUTE_PGM_RSRC2:TGID_X_EN: 1
; COMPUTE_PGM_RSRC2:TGID_Y_EN: 0
; COMPUTE_PGM_RSRC2:TGID_Z_EN: 1
; COMPUTE_PGM_RSRC2:TIDIG_COMP_CNT: 0
	.text
	.protected	Transform_S_S_110_16_16_VW_4 ; -- Begin function Transform_S_S_110_16_16_VW_4
	.globl	Transform_S_S_110_16_16_VW_4
	.p2align	8
	.type	Transform_S_S_110_16_16_VW_4,@function
Transform_S_S_110_16_16_VW_4:           ; @Transform_S_S_110_16_16_VW_4
; %bb.0:
	s_mov_b64 s[22:23], s[0:1]
	s_load_b32 s0, s[0:1], 0x64
	v_mov_b32_e32 v41, v0
	s_mov_b32 s24, s15
	s_mov_b32 s21, s14
	s_mov_b32 s32, 0
	s_waitcnt lgkmcnt(0)
	v_cmp_eq_u16_e64 s0, 0x100, s0
	s_delay_alu instid0(VALU_DEP_1)
	s_and_b32 vcc_lo, exec_lo, s0
	s_mov_b32 s0, -1
	s_cbranch_vccnz .LBB5_2
; %bb.1:
	s_add_u32 s8, s22, 0x58
	s_addc_u32 s9, s23, 0
	s_getpc_b64 s[0:1]
	s_add_u32 s0, s0, __PRETTY_FUNCTION__._ZN10amd_detail9transformIffLb1ELb1ELb0ELj16ELj16ELj4EEEvPT_PKS1_S4_T0_PKS5_S5_S7_jjjjjjbb@rel32@lo+4
	s_addc_u32 s1, s1, __PRETTY_FUNCTION__._ZN10amd_detail9transformIffLb1ELb1ELb0ELj16ELj16ELj4EEEvPT_PKS1_S4_T0_PKS5_S5_S7_jjjjjjbb@rel32@hi+12
	s_delay_alu instid0(SALU_CYCLE_1) | instskip(SKIP_3) | instid1(SALU_CYCLE_1)
	v_dual_mov_b32 v0, s0 :: v_dual_mov_b32 v1, s1
	s_getpc_b64 s[2:3]
	s_add_u32 s2, s2, __assert_fail@rel32@lo+4
	s_addc_u32 s3, s3, __assert_fail@rel32@hi+12
	s_swappc_b64 s[30:31], s[2:3]
	; divergent unreachable
	s_mov_b32 s0, 0
.LBB5_2:
	s_delay_alu instid0(SALU_CYCLE_1)
	s_and_not1_b32 vcc_lo, exec_lo, s0
	s_cbranch_vccnz .LBB5_55
; %bb.3:
	s_load_b256 s[4:11], s[22:23], 0x38
	s_waitcnt lgkmcnt(0)
	s_and_b32 s0, s4, 63
	s_lshr_b32 s1, s4, 6
	s_cmp_lg_u32 s0, 0
	s_cselect_b32 s0, -1, 0
	s_delay_alu instid0(SALU_CYCLE_1) | instskip(SKIP_4) | instid1(VALU_DEP_1)
	s_cmp_lg_u32 s0, 0
	s_addc_u32 s2, s1, 0
	s_load_b64 s[0:1], s[22:23], 0x20
	v_cvt_f32_u32_e32 v0, s2
	s_sub_i32 s11, 0, s2
	v_rcp_iflag_f32_e32 v0, v0
	s_waitcnt_depctr 0xfff
	v_mul_f32_e32 v0, 0x4f7ffffe, v0
	s_delay_alu instid0(VALU_DEP_1) | instskip(NEXT) | instid1(VALU_DEP_1)
	v_cvt_u32_f32_e32 v0, v0
	v_readfirstlane_b32 s3, v0
	s_delay_alu instid0(VALU_DEP_1) | instskip(NEXT) | instid1(SALU_CYCLE_1)
	s_mul_i32 s11, s11, s3
	s_mul_hi_u32 s11, s3, s11
	s_delay_alu instid0(SALU_CYCLE_1)
	s_add_i32 s3, s3, s11
	s_waitcnt lgkmcnt(0)
	s_cmp_eq_u64 s[0:1], 0
	s_mul_hi_u32 s3, s21, s3
	s_cbranch_scc1 .LBB5_6
; %bb.4:
	s_load_b32 s11, s[0:1], 0x0
	s_load_b64 s[0:1], s[22:23], 0x30
	s_waitcnt lgkmcnt(0)
	s_cmp_eq_u64 s[0:1], 0
	s_cbranch_scc1 .LBB5_7
.LBB5_5:
	s_load_b32 s16, s[0:1], 0x0
	s_branch .LBB5_8
.LBB5_6:
	s_clause 0x1
	s_load_b32 s11, s[22:23], 0x18
	s_load_b64 s[0:1], s[22:23], 0x30
	s_waitcnt lgkmcnt(0)
	s_cmp_eq_u64 s[0:1], 0
	s_cbranch_scc0 .LBB5_5
.LBB5_7:
	s_load_b32 s16, s[22:23], 0x28
.LBB5_8:
	s_mul_i32 s0, s3, s2
	s_add_i32 s1, s3, 1
	s_sub_i32 s0, s21, s0
	v_lshrrev_b32_e32 v0, 4, v41
	s_sub_i32 s12, s0, s2
	s_cmp_ge_u32 s0, s2
	s_cselect_b32 s1, s1, s3
	s_cselect_b32 s0, s12, s0
	s_add_i32 s3, s1, 1
	s_cmp_ge_u32 s0, s2
	s_mov_b32 s0, exec_lo
	s_cselect_b32 s1, s3, s1
	s_delay_alu instid0(SALU_CYCLE_1) | instskip(NEXT) | instid1(VALU_DEP_1)
	v_lshl_add_u32 v0, s1, 4, v0
	v_cmpx_gt_u32_e64 s5, v0
	s_cbranch_execz .LBB5_55
; %bb.9:
	v_dual_mov_b32 v8, 0 :: v_dual_lshlrev_b32 v1, 2, v41
	s_mul_i32 s1, s1, s2
	s_clause 0x1
	s_load_b128 s[12:15], s[22:23], 0x0
	s_load_b64 s[2:3], s[22:23], 0x10
	v_and_b32_e32 v9, 60, v1
	s_sub_i32 s0, s21, s1
	s_bitcmp1_b32 s10, 0
	s_mul_i32 s24, s24, s9
	s_cselect_b32 vcc_lo, -1, 0
	v_lshl_or_b32 v11, s0, 6, v9
	s_delay_alu instid0(VALU_DEP_1) | instskip(NEXT) | instid1(VALU_DEP_1)
	v_dual_mov_b32 v13, 0 :: v_dual_add_nc_u32 v12, 4, v11
	v_sub_nc_u32_e64 v10, v12, s4 clamp
	s_waitcnt lgkmcnt(0)
	s_cmp_lg_u64 s[14:15], 0
	s_cselect_b32 s5, -1, 0
	s_delay_alu instid0(VALU_DEP_1) | instskip(SKIP_1) | instid1(VALU_DEP_1)
	v_sub_nc_u32_e32 v4, v11, v10
	s_cmp_eq_u64 s[14:15], 0
	v_mad_u64_u32 v[1:2], null, v0, s6, v[4:5]
	s_cbranch_scc1 .LBB5_11
; %bb.10:
	s_delay_alu instid0(VALU_DEP_1) | instskip(NEXT) | instid1(VALU_DEP_1)
	v_mad_u64_u32 v[2:3], null, v4, s6, v[0:1]
	v_dual_mov_b32 v3, 0 :: v_dual_cndmask_b32 v2, v2, v1
	s_delay_alu instid0(VALU_DEP_1) | instskip(NEXT) | instid1(VALU_DEP_1)
	v_add_nc_u32_e32 v2, s24, v2
	v_lshlrev_b64 v[2:3], 2, v[2:3]
	s_delay_alu instid0(VALU_DEP_1) | instskip(NEXT) | instid1(VALU_DEP_1)
	v_add_co_u32 v2, s0, s14, v2
	v_add_co_ci_u32_e64 v3, s0, s15, v3, s0
	global_load_b32 v13, v[2:3], off
.LBB5_11:
	s_load_b32 s0, s[22:23], 0x50
	v_mad_u64_u32 v[2:3], null, v0, s7, v[4:5]
	s_xor_b32 s10, vcc_lo, -1
	s_waitcnt lgkmcnt(0)
	s_bitcmp1_b32 s0, 8
	s_cselect_b32 s0, -1, 0
	s_cmp_lg_u64 s[2:3], 0
	s_cselect_b32 s9, -1, 0
	s_cmp_eq_u64 s[2:3], 0
	s_cbranch_scc1 .LBB5_13
; %bb.12:
	v_mad_u64_u32 v[5:6], null, v4, s7, v[0:1]
	s_delay_alu instid0(VALU_DEP_1) | instskip(NEXT) | instid1(VALU_DEP_1)
	v_cndmask_b32_e64 v3, v5, v2, s0
	v_dual_mov_b32 v6, 0 :: v_dual_add_nc_u32 v5, s24, v3
	s_delay_alu instid0(VALU_DEP_1) | instskip(NEXT) | instid1(VALU_DEP_1)
	v_lshlrev_b64 v[5:6], 2, v[5:6]
	v_add_co_u32 v5, vcc_lo, s2, v5
	s_delay_alu instid0(VALU_DEP_2)
	v_add_co_ci_u32_e32 v6, vcc_lo, s3, v6, vcc_lo
	global_load_b32 v8, v[5:6], off
.LBB5_13:
	v_cndmask_b32_e64 v3, 0, 1, s10
	s_and_not1_b32 vcc_lo, exec_lo, s10
	s_cbranch_vccnz .LBB5_15
; %bb.14:
	v_mul_lo_u32 v5, s6, v4
	s_delay_alu instid0(VALU_DEP_1)
	v_add3_u32 v5, v5, s6, v0
	s_xor_b32 s0, s0, -1
	s_cbranch_execz .LBB5_16
	s_branch .LBB5_17
.LBB5_15:
                                        ; implicit-def: $vgpr5
	s_xor_b32 s0, s0, -1
.LBB5_16:
	v_add_nc_u32_e32 v5, 1, v1
.LBB5_17:
	v_cndmask_b32_e64 v16, 0, 1, s0
	s_and_not1_b32 vcc_lo, exec_lo, s0
	s_cbranch_vccnz .LBB5_19
; %bb.18:
	v_mul_lo_u32 v6, s7, v4
	s_delay_alu instid0(VALU_DEP_1)
	v_add3_u32 v6, v6, s7, v0
	s_cbranch_execz .LBB5_20
	s_branch .LBB5_21
.LBB5_19:
                                        ; implicit-def: $vgpr6
.LBB5_20:
	v_add_nc_u32_e32 v6, 1, v2
.LBB5_21:
	v_cndmask_b32_e64 v17, 0, 1, s5
	v_dual_mov_b32 v15, 0 :: v_dual_mov_b32 v14, 0
	s_and_not1_b32 vcc_lo, exec_lo, s5
	s_cbranch_vccnz .LBB5_23
; %bb.22:
	v_dual_mov_b32 v19, 0 :: v_dual_add_nc_u32 v18, s24, v5
	s_delay_alu instid0(VALU_DEP_1) | instskip(NEXT) | instid1(VALU_DEP_1)
	v_lshlrev_b64 v[18:19], 2, v[18:19]
	v_add_co_u32 v18, vcc_lo, s14, v18
	s_delay_alu instid0(VALU_DEP_2)
	v_add_co_ci_u32_e32 v19, vcc_lo, s15, v19, vcc_lo
	global_load_b32 v14, v[18:19], off
.LBB5_23:
	v_cndmask_b32_e64 v18, 0, 1, s9
	s_and_not1_b32 vcc_lo, exec_lo, s9
	s_cbranch_vccnz .LBB5_25
; %bb.24:
	v_dual_mov_b32 v6, 0 :: v_dual_add_nc_u32 v5, s24, v6
	s_delay_alu instid0(VALU_DEP_1) | instskip(NEXT) | instid1(VALU_DEP_1)
	v_lshlrev_b64 v[5:6], 2, v[5:6]
	v_add_co_u32 v5, vcc_lo, s2, v5
	s_delay_alu instid0(VALU_DEP_2)
	v_add_co_ci_u32_e32 v6, vcc_lo, s3, v6, vcc_lo
	global_load_b32 v15, v[5:6], off
.LBB5_25:
	v_cmp_ne_u32_e32 vcc_lo, 1, v3
	v_add_nc_u32_e32 v19, 2, v4
	s_cbranch_vccnz .LBB5_27
; %bb.26:
	s_delay_alu instid0(VALU_DEP_1)
	v_mad_u64_u32 v[5:6], null, v19, s6, v[0:1]
	s_cbranch_execz .LBB5_28
	s_branch .LBB5_29
.LBB5_27:
                                        ; implicit-def: $vgpr5
.LBB5_28:
	v_add_nc_u32_e32 v5, 2, v1
.LBB5_29:
	v_cmp_ne_u32_e32 vcc_lo, 1, v16
	s_cbranch_vccnz .LBB5_31
; %bb.30:
	v_mad_u64_u32 v[6:7], null, v19, s7, v[0:1]
	s_cbranch_execz .LBB5_32
	s_branch .LBB5_33
.LBB5_31:
                                        ; implicit-def: $vgpr6
.LBB5_32:
	v_add_nc_u32_e32 v6, 2, v2
.LBB5_33:
	v_cmp_ne_u32_e32 vcc_lo, 1, v17
	v_mov_b32_e32 v19, 0
	v_mov_b32_e32 v7, 0
	s_cbranch_vccnz .LBB5_35
; %bb.34:
	v_dual_mov_b32 v21, 0 :: v_dual_add_nc_u32 v20, s24, v5
	s_delay_alu instid0(VALU_DEP_1) | instskip(NEXT) | instid1(VALU_DEP_1)
	v_lshlrev_b64 v[20:21], 2, v[20:21]
	v_add_co_u32 v20, vcc_lo, s14, v20
	s_delay_alu instid0(VALU_DEP_2)
	v_add_co_ci_u32_e32 v21, vcc_lo, s15, v21, vcc_lo
	global_load_b32 v7, v[20:21], off
.LBB5_35:
	v_cmp_ne_u32_e32 vcc_lo, 1, v18
	s_cbranch_vccnz .LBB5_37
; %bb.36:
	v_dual_mov_b32 v6, 0 :: v_dual_add_nc_u32 v5, s24, v6
	s_delay_alu instid0(VALU_DEP_1) | instskip(NEXT) | instid1(VALU_DEP_1)
	v_lshlrev_b64 v[5:6], 2, v[5:6]
	v_add_co_u32 v5, vcc_lo, s2, v5
	s_delay_alu instid0(VALU_DEP_2)
	v_add_co_ci_u32_e32 v6, vcc_lo, s3, v6, vcc_lo
	global_load_b32 v19, v[5:6], off
.LBB5_37:
	v_cmp_ne_u32_e32 vcc_lo, 1, v3
	v_add_nc_u32_e32 v6, 3, v4
	s_cbranch_vccnz .LBB5_39
; %bb.38:
	s_delay_alu instid0(VALU_DEP_1)
	v_mad_u64_u32 v[3:4], null, v6, s6, v[0:1]
	s_cbranch_execz .LBB5_40
	s_branch .LBB5_41
.LBB5_39:
                                        ; implicit-def: $vgpr3
.LBB5_40:
	v_add_nc_u32_e32 v3, 3, v1
.LBB5_41:
	v_cmp_ne_u32_e32 vcc_lo, 1, v16
	s_cbranch_vccnz .LBB5_43
; %bb.42:
	v_mad_u64_u32 v[4:5], null, v6, s7, v[0:1]
	s_cbranch_execz .LBB5_44
	s_branch .LBB5_45
.LBB5_43:
                                        ; implicit-def: $vgpr4
.LBB5_44:
	v_add_nc_u32_e32 v4, 3, v2
.LBB5_45:
	v_cmp_ne_u32_e32 vcc_lo, 1, v17
	v_dual_mov_b32 v5, 0 :: v_dual_mov_b32 v2, 0
	s_cbranch_vccnz .LBB5_47
; %bb.46:
	v_dual_mov_b32 v2, 0 :: v_dual_add_nc_u32 v1, s24, v3
	s_delay_alu instid0(VALU_DEP_1) | instskip(NEXT) | instid1(VALU_DEP_1)
	v_lshlrev_b64 v[1:2], 2, v[1:2]
	v_add_co_u32 v1, vcc_lo, s14, v1
	s_delay_alu instid0(VALU_DEP_2)
	v_add_co_ci_u32_e32 v2, vcc_lo, s15, v2, vcc_lo
	global_load_b32 v2, v[1:2], off
.LBB5_47:
	v_cmp_ne_u32_e32 vcc_lo, 1, v18
	s_cbranch_vccnz .LBB5_49
; %bb.48:
	v_dual_mov_b32 v4, 0 :: v_dual_add_nc_u32 v3, s24, v4
	s_delay_alu instid0(VALU_DEP_1) | instskip(NEXT) | instid1(VALU_DEP_1)
	v_lshlrev_b64 v[3:4], 2, v[3:4]
	v_add_co_u32 v3, vcc_lo, s2, v3
	s_delay_alu instid0(VALU_DEP_2)
	v_add_co_ci_u32_e32 v4, vcc_lo, s3, v4, vcc_lo
	global_load_b32 v5, v[3:4], off
.LBB5_49:
	s_waitcnt vmcnt(0)
	v_dual_mul_f32 v16, s16, v8 :: v_dual_mul_f32 v1, s16, v15
	v_mul_f32_e32 v4, s16, v19
	v_mul_f32_e32 v8, s16, v5
	s_mov_b32 s0, exec_lo
	s_delay_alu instid0(VALU_DEP_3)
	v_dual_fmac_f32 v16, s11, v13 :: v_dual_fmac_f32 v1, s11, v14
	v_mul_lo_u32 v13, v0, s8
	v_fmac_f32_e32 v4, s11, v7
	v_fmac_f32_e32 v8, s11, v2
	v_cmpx_ge_u32_e64 s4, v12
	s_xor_b32 s0, exec_lo, s0
	s_cbranch_execz .LBB5_51
; %bb.50:
	v_dual_mov_b32 v3, 0 :: v_dual_add_nc_u32 v0, s24, v11
	s_delay_alu instid0(VALU_DEP_1) | instskip(NEXT) | instid1(VALU_DEP_1)
	v_sub_nc_u32_e32 v0, v0, v10
	v_add_nc_u32_e32 v2, v0, v13
	s_delay_alu instid0(VALU_DEP_3) | instskip(SKIP_1) | instid1(VALU_DEP_3)
	v_mov_b32_e32 v6, v3
	v_mov_b32_e32 v10, v3
                                        ; implicit-def: $vgpr13
	v_add_nc_u32_e32 v9, 2, v2
	v_add_nc_u32_e32 v5, 1, v2
	v_lshlrev_b64 v[11:12], 2, v[2:3]
	v_add_nc_u32_e32 v2, 3, v2
	s_delay_alu instid0(VALU_DEP_4) | instskip(NEXT) | instid1(VALU_DEP_4)
	v_lshlrev_b64 v[9:10], 2, v[9:10]
	v_lshlrev_b64 v[5:6], 2, v[5:6]
	s_delay_alu instid0(VALU_DEP_4) | instskip(SKIP_2) | instid1(VALU_DEP_4)
	v_add_co_u32 v11, vcc_lo, s12, v11
	v_add_co_ci_u32_e32 v12, vcc_lo, s13, v12, vcc_lo
	v_lshlrev_b64 v[2:3], 2, v[2:3]
	v_add_co_u32 v5, vcc_lo, s12, v5
	v_add_co_ci_u32_e32 v6, vcc_lo, s13, v6, vcc_lo
	v_add_co_u32 v9, vcc_lo, s12, v9
	v_add_co_ci_u32_e32 v10, vcc_lo, s13, v10, vcc_lo
	;; [unrolled: 2-line block ×3, first 2 shown]
	s_clause 0x3
	global_store_b32 v[11:12], v16, off
	global_store_b32 v[5:6], v1, off
	;; [unrolled: 1-line block ×4, first 2 shown]
                                        ; implicit-def: $vgpr0_vgpr1_vgpr2_vgpr3
                                        ; implicit-def: $vgpr2_vgpr3_vgpr4_vgpr5
                                        ; implicit-def: $vgpr10
                                        ; implicit-def: $vgpr16
                                        ; implicit-def: $vgpr9
                                        ; implicit-def: $vgpr5_vgpr6_vgpr7_vgpr8
.LBB5_51:
	s_and_not1_saveexec_b32 s0, s0
	s_cbranch_execz .LBB5_55
; %bb.52:
	v_cmp_gt_u32_e32 vcc_lo, 4, v10
	s_and_b32 exec_lo, exec_lo, vcc_lo
	s_cbranch_execz .LBB5_55
; %bb.53:
	v_lshl_or_b32 v0, s21, 6, v9
	s_lshl_b32 s0, s1, 6
	s_mov_b32 s1, 0
	s_delay_alu instid0(VALU_DEP_1) | instskip(SKIP_1) | instid1(VALU_DEP_2)
	v_subrev_nc_u32_e32 v2, s0, v0
	v_add3_u32 v0, s24, v13, v0
	v_add_nc_u32_e32 v3, 4, v2
	s_delay_alu instid0(VALU_DEP_1) | instskip(NEXT) | instid1(VALU_DEP_1)
	v_min_u32_e32 v3, s4, v3
	v_sub_nc_u32_e32 v3, v2, v3
	s_delay_alu instid0(VALU_DEP_4) | instskip(NEXT) | instid1(VALU_DEP_2)
	v_subrev_nc_u32_e32 v2, s0, v0
	v_dual_mov_b32 v3, 0 :: v_dual_add_nc_u32 v0, 3, v3
	.p2align	6
.LBB5_54:                               ; =>This Inner Loop Header: Depth=1
	s_delay_alu instid0(VALU_DEP_1) | instskip(NEXT) | instid1(VALU_DEP_2)
	v_add_nc_u32_e32 v0, 1, v0
	v_lshlrev_b64 v[5:6], 2, v[2:3]
	v_add_nc_u32_e32 v2, 1, v2
	s_delay_alu instid0(VALU_DEP_3) | instskip(SKIP_3) | instid1(VALU_DEP_2)
	v_cmp_eq_u32_e32 vcc_lo, 1, v0
	v_cndmask_b32_e32 v7, v16, v1, vcc_lo
	v_cmp_eq_u32_e64 s0, 2, v0
	v_cmp_lt_u32_e32 vcc_lo, 2, v0
	v_cndmask_b32_e64 v7, v7, v4, s0
	v_add_co_u32 v5, s0, s12, v5
	s_delay_alu instid0(VALU_DEP_1) | instskip(SKIP_2) | instid1(VALU_DEP_1)
	v_add_co_ci_u32_e64 v6, s0, s13, v6, s0
	v_cmp_eq_u32_e64 s0, 3, v0
	s_or_b32 s1, vcc_lo, s1
	v_cndmask_b32_e64 v7, v7, v8, s0
	global_store_b32 v[5:6], v7, off
	s_and_not1_b32 exec_lo, exec_lo, s1
	s_cbranch_execnz .LBB5_54
.LBB5_55:
	s_endpgm
	.section	.rodata,"a",@progbits
	.p2align	6, 0x0
	.amdhsa_kernel Transform_S_S_110_16_16_VW_4
		.amdhsa_group_segment_fixed_size 0
		.amdhsa_private_segment_fixed_size 64
		.amdhsa_kernarg_size 344
		.amdhsa_user_sgpr_count 14
		.amdhsa_user_sgpr_dispatch_ptr 0
		.amdhsa_user_sgpr_queue_ptr 0
		.amdhsa_user_sgpr_kernarg_segment_ptr 1
		.amdhsa_user_sgpr_dispatch_id 0
		.amdhsa_user_sgpr_private_segment_size 0
		.amdhsa_wavefront_size32 1
		.amdhsa_uses_dynamic_stack 0
		.amdhsa_enable_private_segment 1
		.amdhsa_system_sgpr_workgroup_id_x 1
		.amdhsa_system_sgpr_workgroup_id_y 0
		.amdhsa_system_sgpr_workgroup_id_z 1
		.amdhsa_system_sgpr_workgroup_info 0
		.amdhsa_system_vgpr_workitem_id 0
		.amdhsa_next_free_vgpr 42
		.amdhsa_next_free_sgpr 34
		.amdhsa_reserve_vcc 1
		.amdhsa_float_round_mode_32 0
		.amdhsa_float_round_mode_16_64 0
		.amdhsa_float_denorm_mode_32 3
		.amdhsa_float_denorm_mode_16_64 3
		.amdhsa_dx10_clamp 1
		.amdhsa_ieee_mode 1
		.amdhsa_fp16_overflow 0
		.amdhsa_workgroup_processor_mode 1
		.amdhsa_memory_ordered 1
		.amdhsa_forward_progress 0
		.amdhsa_shared_vgpr_count 0
		.amdhsa_exception_fp_ieee_invalid_op 0
		.amdhsa_exception_fp_denorm_src 0
		.amdhsa_exception_fp_ieee_div_zero 0
		.amdhsa_exception_fp_ieee_overflow 0
		.amdhsa_exception_fp_ieee_underflow 0
		.amdhsa_exception_fp_ieee_inexact 0
		.amdhsa_exception_int_div_zero 0
	.end_amdhsa_kernel
	.text
.Lfunc_end5:
	.size	Transform_S_S_110_16_16_VW_4, .Lfunc_end5-Transform_S_S_110_16_16_VW_4
                                        ; -- End function
	.section	.AMDGPU.csdata,"",@progbits
; Kernel info:
; codeLenInByte = 1724
; NumSgprs: 36
; NumVgprs: 42
; ScratchSize: 64
; MemoryBound: 0
; FloatMode: 240
; IeeeMode: 1
; LDSByteSize: 0 bytes/workgroup (compile time only)
; SGPRBlocks: 4
; VGPRBlocks: 5
; NumSGPRsForWavesPerEU: 36
; NumVGPRsForWavesPerEU: 42
; Occupancy: 16
; WaveLimiterHint : 1
; COMPUTE_PGM_RSRC2:SCRATCH_EN: 1
; COMPUTE_PGM_RSRC2:USER_SGPR: 14
; COMPUTE_PGM_RSRC2:TRAP_HANDLER: 0
; COMPUTE_PGM_RSRC2:TGID_X_EN: 1
; COMPUTE_PGM_RSRC2:TGID_Y_EN: 0
; COMPUTE_PGM_RSRC2:TGID_Z_EN: 1
; COMPUTE_PGM_RSRC2:TIDIG_COMP_CNT: 0
	.text
	.protected	Transform_S_S_101_16_16_VW_1 ; -- Begin function Transform_S_S_101_16_16_VW_1
	.globl	Transform_S_S_101_16_16_VW_1
	.p2align	8
	.type	Transform_S_S_101_16_16_VW_1,@function
Transform_S_S_101_16_16_VW_1:           ; @Transform_S_S_101_16_16_VW_1
; %bb.0:
	s_mov_b64 s[22:23], s[0:1]
	s_load_b32 s0, s[0:1], 0x64
	v_mov_b32_e32 v41, v0
	s_mov_b32 s21, s15
	s_mov_b32 s24, s14
	;; [unrolled: 1-line block ×3, first 2 shown]
	s_waitcnt lgkmcnt(0)
	v_cmp_eq_u16_e64 s0, 0x100, s0
	s_delay_alu instid0(VALU_DEP_1)
	s_and_b32 vcc_lo, exec_lo, s0
	s_mov_b32 s0, -1
	s_cbranch_vccnz .LBB6_2
; %bb.1:
	s_add_u32 s8, s22, 0x58
	s_addc_u32 s9, s23, 0
	s_getpc_b64 s[0:1]
	s_add_u32 s0, s0, __PRETTY_FUNCTION__._ZN10amd_detail9transformIffLb1ELb0ELb1ELj16ELj16ELj1EEEvPT_PKS1_S4_T0_PKS5_S5_S7_jjjjjjbb@rel32@lo+4
	s_addc_u32 s1, s1, __PRETTY_FUNCTION__._ZN10amd_detail9transformIffLb1ELb0ELb1ELj16ELj16ELj1EEEvPT_PKS1_S4_T0_PKS5_S5_S7_jjjjjjbb@rel32@hi+12
	s_delay_alu instid0(SALU_CYCLE_1) | instskip(SKIP_3) | instid1(SALU_CYCLE_1)
	v_dual_mov_b32 v0, s0 :: v_dual_mov_b32 v1, s1
	s_getpc_b64 s[2:3]
	s_add_u32 s2, s2, __assert_fail@rel32@lo+4
	s_addc_u32 s3, s3, __assert_fail@rel32@hi+12
	s_swappc_b64 s[30:31], s[2:3]
	; divergent unreachable
	s_mov_b32 s0, 0
.LBB6_2:
	s_delay_alu instid0(SALU_CYCLE_1)
	s_and_not1_b32 vcc_lo, exec_lo, s0
	s_cbranch_vccnz .LBB6_14
; %bb.3:
	s_load_b256 s[0:7], s[22:23], 0x38
	s_waitcnt lgkmcnt(0)
	s_and_b32 s7, s0, 15
	s_lshr_b32 s8, s0, 4
	s_cmp_lg_u32 s7, 0
	s_cselect_b32 s7, -1, 0
	s_delay_alu instid0(SALU_CYCLE_1) | instskip(SKIP_4) | instid1(VALU_DEP_1)
	s_cmp_lg_u32 s7, 0
	s_addc_u32 s10, s8, 0
	s_load_b64 s[8:9], s[22:23], 0x20
	v_cvt_f32_u32_e32 v0, s10
	s_sub_i32 s11, 0, s10
	v_rcp_iflag_f32_e32 v0, v0
	s_waitcnt_depctr 0xfff
	v_mul_f32_e32 v0, 0x4f7ffffe, v0
	s_delay_alu instid0(VALU_DEP_1) | instskip(NEXT) | instid1(VALU_DEP_1)
	v_cvt_u32_f32_e32 v0, v0
	v_readfirstlane_b32 s7, v0
	s_delay_alu instid0(VALU_DEP_1) | instskip(NEXT) | instid1(SALU_CYCLE_1)
	s_mul_i32 s11, s11, s7
	s_mul_hi_u32 s11, s7, s11
	s_delay_alu instid0(SALU_CYCLE_1)
	s_add_i32 s7, s7, s11
	s_waitcnt lgkmcnt(0)
	s_cmp_eq_u64 s[8:9], 0
	s_mul_hi_u32 s11, s24, s7
	s_cbranch_scc1 .LBB6_6
; %bb.4:
	s_load_b32 s7, s[8:9], 0x0
	s_load_b64 s[8:9], s[22:23], 0x30
	s_waitcnt lgkmcnt(0)
	s_cmp_eq_u64 s[8:9], 0
	s_cbranch_scc1 .LBB6_7
.LBB6_5:
	s_load_b32 s12, s[8:9], 0x0
	s_branch .LBB6_8
.LBB6_6:
	s_clause 0x1
	s_load_b32 s7, s[22:23], 0x18
	s_load_b64 s[8:9], s[22:23], 0x30
	s_waitcnt lgkmcnt(0)
	s_cmp_eq_u64 s[8:9], 0
	s_cbranch_scc0 .LBB6_5
.LBB6_7:
	s_load_b32 s12, s[22:23], 0x28
.LBB6_8:
	s_mul_i32 s8, s11, s10
	s_add_i32 s9, s11, 1
	s_sub_i32 s8, s24, s8
	v_and_b32_e32 v0, 15, v41
	s_sub_i32 s13, s8, s10
	s_cmp_ge_u32 s8, s10
	v_lshrrev_b32_e32 v2, 4, v41
	s_cselect_b32 s9, s9, s11
	s_cselect_b32 s8, s13, s8
	s_add_i32 s11, s9, 1
	s_cmp_ge_u32 s8, s10
	s_cselect_b32 s8, s11, s9
	s_delay_alu instid0(SALU_CYCLE_1) | instskip(NEXT) | instid1(SALU_CYCLE_1)
	s_mul_i32 s9, s8, s10
	s_sub_i32 s9, s24, s9
	s_delay_alu instid0(SALU_CYCLE_1) | instskip(SKIP_1) | instid1(VALU_DEP_2)
	v_lshl_or_b32 v1, s9, 4, v0
	v_lshl_add_u32 v0, s8, 4, v2
	v_cmp_gt_u32_e32 vcc_lo, s0, v1
	s_delay_alu instid0(VALU_DEP_2) | instskip(NEXT) | instid1(VALU_DEP_1)
	v_cmp_gt_u32_e64 s0, s1, v0
	s_and_b32 s0, vcc_lo, s0
	s_delay_alu instid0(SALU_CYCLE_1)
	s_and_saveexec_b32 s1, s0
	s_cbranch_execz .LBB6_14
; %bb.9:
	s_clause 0x1
	s_load_b128 s[8:11], s[22:23], 0x0
	s_load_b64 s[0:1], s[22:23], 0x10
	v_dual_mov_b32 v3, 0 :: v_dual_mov_b32 v2, 0
	s_mul_i32 s21, s21, s5
	s_waitcnt lgkmcnt(0)
	s_cmp_eq_u64 s[10:11], 0
	s_cbranch_scc1 .LBB6_11
; %bb.10:
	s_bitcmp1_b32 s6, 0
	v_mov_b32_e32 v5, 0
	s_cselect_b32 vcc_lo, -1, 0
	v_cndmask_b32_e32 v2, v1, v0, vcc_lo
	v_cndmask_b32_e32 v4, v0, v1, vcc_lo
	s_delay_alu instid0(VALU_DEP_2) | instskip(NEXT) | instid1(VALU_DEP_1)
	v_mul_lo_u32 v2, v2, s2
	v_add3_u32 v4, v4, s21, v2
	s_delay_alu instid0(VALU_DEP_1) | instskip(NEXT) | instid1(VALU_DEP_1)
	v_lshlrev_b64 v[4:5], 2, v[4:5]
	v_add_co_u32 v4, vcc_lo, s10, v4
	s_delay_alu instid0(VALU_DEP_2)
	v_add_co_ci_u32_e32 v5, vcc_lo, s11, v5, vcc_lo
	global_load_b32 v2, v[4:5], off
.LBB6_11:
	s_cmp_eq_u64 s[0:1], 0
	s_cbranch_scc1 .LBB6_13
; %bb.12:
	s_load_b32 s2, s[22:23], 0x50
	v_mov_b32_e32 v4, 0
	s_waitcnt lgkmcnt(0)
	s_bitcmp1_b32 s2, 8
	s_cselect_b32 vcc_lo, -1, 0
	v_cndmask_b32_e32 v3, v0, v1, vcc_lo
	v_cndmask_b32_e32 v5, v1, v0, vcc_lo
	s_delay_alu instid0(VALU_DEP_2) | instskip(NEXT) | instid1(VALU_DEP_1)
	v_mul_lo_u32 v3, v3, s3
	v_add3_u32 v3, v5, s21, v3
	s_delay_alu instid0(VALU_DEP_1) | instskip(NEXT) | instid1(VALU_DEP_1)
	v_lshlrev_b64 v[3:4], 2, v[3:4]
	v_add_co_u32 v3, vcc_lo, s0, v3
	s_delay_alu instid0(VALU_DEP_2)
	v_add_co_ci_u32_e32 v4, vcc_lo, s1, v4, vcc_lo
	global_load_b32 v3, v[3:4], off
.LBB6_13:
	v_mul_lo_u32 v4, v1, s4
	v_mov_b32_e32 v1, 0
	s_waitcnt vmcnt(0)
	v_mul_f32_e32 v3, s12, v3
	s_delay_alu instid0(VALU_DEP_1) | instskip(NEXT) | instid1(VALU_DEP_4)
	v_fmac_f32_e32 v3, s7, v2
	v_add3_u32 v0, v0, s21, v4
	s_delay_alu instid0(VALU_DEP_1) | instskip(NEXT) | instid1(VALU_DEP_1)
	v_lshlrev_b64 v[0:1], 2, v[0:1]
	v_add_co_u32 v0, vcc_lo, s8, v0
	s_delay_alu instid0(VALU_DEP_2)
	v_add_co_ci_u32_e32 v1, vcc_lo, s9, v1, vcc_lo
	global_store_b32 v[0:1], v3, off
.LBB6_14:
	s_endpgm
	.section	.rodata,"a",@progbits
	.p2align	6, 0x0
	.amdhsa_kernel Transform_S_S_101_16_16_VW_1
		.amdhsa_group_segment_fixed_size 0
		.amdhsa_private_segment_fixed_size 64
		.amdhsa_kernarg_size 344
		.amdhsa_user_sgpr_count 14
		.amdhsa_user_sgpr_dispatch_ptr 0
		.amdhsa_user_sgpr_queue_ptr 0
		.amdhsa_user_sgpr_kernarg_segment_ptr 1
		.amdhsa_user_sgpr_dispatch_id 0
		.amdhsa_user_sgpr_private_segment_size 0
		.amdhsa_wavefront_size32 1
		.amdhsa_uses_dynamic_stack 0
		.amdhsa_enable_private_segment 1
		.amdhsa_system_sgpr_workgroup_id_x 1
		.amdhsa_system_sgpr_workgroup_id_y 0
		.amdhsa_system_sgpr_workgroup_id_z 1
		.amdhsa_system_sgpr_workgroup_info 0
		.amdhsa_system_vgpr_workitem_id 0
		.amdhsa_next_free_vgpr 42
		.amdhsa_next_free_sgpr 34
		.amdhsa_reserve_vcc 1
		.amdhsa_float_round_mode_32 0
		.amdhsa_float_round_mode_16_64 0
		.amdhsa_float_denorm_mode_32 3
		.amdhsa_float_denorm_mode_16_64 3
		.amdhsa_dx10_clamp 1
		.amdhsa_ieee_mode 1
		.amdhsa_fp16_overflow 0
		.amdhsa_workgroup_processor_mode 1
		.amdhsa_memory_ordered 1
		.amdhsa_forward_progress 0
		.amdhsa_shared_vgpr_count 0
		.amdhsa_exception_fp_ieee_invalid_op 0
		.amdhsa_exception_fp_denorm_src 0
		.amdhsa_exception_fp_ieee_div_zero 0
		.amdhsa_exception_fp_ieee_overflow 0
		.amdhsa_exception_fp_ieee_underflow 0
		.amdhsa_exception_fp_ieee_inexact 0
		.amdhsa_exception_int_div_zero 0
	.end_amdhsa_kernel
	.text
.Lfunc_end6:
	.size	Transform_S_S_101_16_16_VW_1, .Lfunc_end6-Transform_S_S_101_16_16_VW_1
                                        ; -- End function
	.section	.AMDGPU.csdata,"",@progbits
; Kernel info:
; codeLenInByte = 748
; NumSgprs: 36
; NumVgprs: 42
; ScratchSize: 64
; MemoryBound: 0
; FloatMode: 240
; IeeeMode: 1
; LDSByteSize: 0 bytes/workgroup (compile time only)
; SGPRBlocks: 4
; VGPRBlocks: 5
; NumSGPRsForWavesPerEU: 36
; NumVGPRsForWavesPerEU: 42
; Occupancy: 16
; WaveLimiterHint : 1
; COMPUTE_PGM_RSRC2:SCRATCH_EN: 1
; COMPUTE_PGM_RSRC2:USER_SGPR: 14
; COMPUTE_PGM_RSRC2:TRAP_HANDLER: 0
; COMPUTE_PGM_RSRC2:TGID_X_EN: 1
; COMPUTE_PGM_RSRC2:TGID_Y_EN: 0
; COMPUTE_PGM_RSRC2:TGID_Z_EN: 1
; COMPUTE_PGM_RSRC2:TIDIG_COMP_CNT: 0
	.text
	.protected	Transform_S_S_101_16_16_VW_4 ; -- Begin function Transform_S_S_101_16_16_VW_4
	.globl	Transform_S_S_101_16_16_VW_4
	.p2align	8
	.type	Transform_S_S_101_16_16_VW_4,@function
Transform_S_S_101_16_16_VW_4:           ; @Transform_S_S_101_16_16_VW_4
; %bb.0:
	s_mov_b64 s[22:23], s[0:1]
	s_load_b32 s0, s[0:1], 0x64
	v_mov_b32_e32 v41, v0
	s_mov_b32 s24, s15
	s_mov_b32 s21, s14
	;; [unrolled: 1-line block ×3, first 2 shown]
	s_waitcnt lgkmcnt(0)
	v_cmp_eq_u16_e64 s0, 0x100, s0
	s_delay_alu instid0(VALU_DEP_1)
	s_and_b32 vcc_lo, exec_lo, s0
	s_mov_b32 s0, -1
	s_cbranch_vccnz .LBB7_2
; %bb.1:
	s_add_u32 s8, s22, 0x58
	s_addc_u32 s9, s23, 0
	s_getpc_b64 s[0:1]
	s_add_u32 s0, s0, __PRETTY_FUNCTION__._ZN10amd_detail9transformIffLb1ELb0ELb1ELj16ELj16ELj4EEEvPT_PKS1_S4_T0_PKS5_S5_S7_jjjjjjbb@rel32@lo+4
	s_addc_u32 s1, s1, __PRETTY_FUNCTION__._ZN10amd_detail9transformIffLb1ELb0ELb1ELj16ELj16ELj4EEEvPT_PKS1_S4_T0_PKS5_S5_S7_jjjjjjbb@rel32@hi+12
	s_delay_alu instid0(SALU_CYCLE_1) | instskip(SKIP_3) | instid1(SALU_CYCLE_1)
	v_dual_mov_b32 v0, s0 :: v_dual_mov_b32 v1, s1
	s_getpc_b64 s[2:3]
	s_add_u32 s2, s2, __assert_fail@rel32@lo+4
	s_addc_u32 s3, s3, __assert_fail@rel32@hi+12
	s_swappc_b64 s[30:31], s[2:3]
	; divergent unreachable
	s_mov_b32 s0, 0
.LBB7_2:
	s_delay_alu instid0(SALU_CYCLE_1)
	s_and_not1_b32 vcc_lo, exec_lo, s0
	s_cbranch_vccnz .LBB7_55
; %bb.3:
	s_load_b128 s[0:3], s[22:23], 0x38
	s_waitcnt lgkmcnt(0)
	s_and_b32 s4, s0, 15
	s_lshr_b32 s5, s0, 4
	s_cmp_lg_u32 s4, 0
	s_cselect_b32 s4, -1, 0
	s_delay_alu instid0(SALU_CYCLE_1) | instskip(SKIP_4) | instid1(VALU_DEP_1)
	s_cmp_lg_u32 s4, 0
	s_addc_u32 s6, s5, 0
	s_load_b64 s[4:5], s[22:23], 0x20
	v_cvt_f32_u32_e32 v0, s6
	s_sub_i32 s8, 0, s6
	v_rcp_iflag_f32_e32 v0, v0
	s_waitcnt_depctr 0xfff
	v_mul_f32_e32 v0, 0x4f7ffffe, v0
	s_delay_alu instid0(VALU_DEP_1) | instskip(NEXT) | instid1(VALU_DEP_1)
	v_cvt_u32_f32_e32 v0, v0
	v_readfirstlane_b32 s7, v0
	s_delay_alu instid0(VALU_DEP_1) | instskip(NEXT) | instid1(SALU_CYCLE_1)
	s_mul_i32 s8, s8, s7
	s_mul_hi_u32 s8, s7, s8
	s_delay_alu instid0(SALU_CYCLE_1)
	s_add_i32 s7, s7, s8
	s_waitcnt lgkmcnt(0)
	s_cmp_eq_u64 s[4:5], 0
	s_mul_hi_u32 s7, s21, s7
	s_cbranch_scc1 .LBB7_6
; %bb.4:
	s_load_b32 s15, s[4:5], 0x0
	s_load_b64 s[4:5], s[22:23], 0x30
	s_waitcnt lgkmcnt(0)
	s_cmp_eq_u64 s[4:5], 0
	s_cbranch_scc1 .LBB7_7
.LBB7_5:
	s_load_b32 s16, s[4:5], 0x0
	s_branch .LBB7_8
.LBB7_6:
	s_clause 0x1
	s_load_b32 s15, s[22:23], 0x18
	s_load_b64 s[4:5], s[22:23], 0x30
	s_waitcnt lgkmcnt(0)
	s_cmp_eq_u64 s[4:5], 0
	s_cbranch_scc0 .LBB7_5
.LBB7_7:
	s_load_b32 s16, s[22:23], 0x28
.LBB7_8:
	s_mul_i32 s4, s7, s6
	s_add_i32 s5, s7, 1
	s_sub_i32 s4, s21, s4
	v_and_b32_e32 v10, 15, v41
	s_sub_i32 s8, s4, s6
	s_cmp_ge_u32 s4, s6
	s_cselect_b32 s5, s5, s7
	s_cselect_b32 s4, s8, s4
	s_add_i32 s7, s5, 1
	s_cmp_ge_u32 s4, s6
	s_cselect_b32 s12, s7, s5
	s_delay_alu instid0(SALU_CYCLE_1) | instskip(NEXT) | instid1(SALU_CYCLE_1)
	s_mul_i32 s14, s12, s6
	s_sub_i32 s4, s21, s14
	s_delay_alu instid0(SALU_CYCLE_1) | instskip(NEXT) | instid1(VALU_DEP_1)
	v_lshl_or_b32 v0, s4, 4, v10
	v_cmp_gt_u32_e32 vcc_lo, s0, v0
	s_and_saveexec_b32 s0, vcc_lo
	s_cbranch_execz .LBB7_55
; %bb.9:
	v_lshrrev_b32_e32 v1, 2, v41
	s_clause 0x1
	s_load_b128 s[8:11], s[22:23], 0x48
	s_load_b128 s[4:7], s[22:23], 0x0
	s_waitcnt lgkmcnt(0)
	s_lshl_b32 s11, s12, 6
	s_load_b64 s[12:13], s[22:23], 0x10
	v_dual_mov_b32 v4, 0 :: v_dual_and_b32 v11, 0xfc, v1
	v_mov_b32_e32 v5, 0
	s_delay_alu instid0(VALU_DEP_2) | instskip(NEXT) | instid1(VALU_DEP_1)
	v_add_nc_u32_e32 v9, s11, v11
	v_add_nc_u32_e32 v12, 4, v9
	v_mad_u64_u32 v[1:2], null, v0, s2, v[9:10]
	s_bitcmp1_b32 s10, 0
	s_delay_alu instid0(VALU_DEP_2) | instskip(SKIP_4) | instid1(VALU_DEP_2)
	v_sub_nc_u32_e64 v13, v12, s1 clamp
	s_cselect_b32 vcc_lo, -1, 0
	s_cmp_lg_u64 s[6:7], 0
	s_mul_i32 s24, s24, s9
	s_cselect_b32 s10, -1, 0
	v_sub_nc_u32_e32 v8, v1, v13
	v_sub_nc_u32_e32 v6, v9, v13
	s_cmp_eq_u64 s[6:7], 0
	s_cbranch_scc1 .LBB7_11
; %bb.10:
	s_delay_alu instid0(VALU_DEP_1) | instskip(NEXT) | instid1(VALU_DEP_1)
	v_mad_u64_u32 v[1:2], null, v6, s2, v[0:1]
	v_dual_mov_b32 v2, 0 :: v_dual_cndmask_b32 v1, v8, v1
	s_delay_alu instid0(VALU_DEP_1) | instskip(NEXT) | instid1(VALU_DEP_1)
	v_add_nc_u32_e32 v1, s24, v1
	v_lshlrev_b64 v[1:2], 2, v[1:2]
	s_delay_alu instid0(VALU_DEP_1) | instskip(NEXT) | instid1(VALU_DEP_1)
	v_add_co_u32 v1, s0, s6, v1
	v_add_co_ci_u32_e64 v2, s0, s7, v2, s0
	global_load_b32 v5, v[1:2], off
.LBB7_11:
	s_load_b32 s0, s[22:23], 0x50
	v_mad_u64_u32 v[1:2], null, v0, s3, v[9:10]
	s_xor_b32 s17, vcc_lo, -1
	s_delay_alu instid0(VALU_DEP_1)
	v_sub_nc_u32_e32 v7, v1, v13
	s_waitcnt lgkmcnt(0)
	s_bitcmp1_b32 s0, 8
	s_cselect_b32 s0, -1, 0
	s_cmp_lg_u64 s[12:13], 0
	s_cselect_b32 s9, -1, 0
	s_cmp_eq_u64 s[12:13], 0
	s_cbranch_scc1 .LBB7_13
; %bb.12:
	v_mad_u64_u32 v[1:2], null, v6, s3, v[0:1]
	s_delay_alu instid0(VALU_DEP_1) | instskip(NEXT) | instid1(VALU_DEP_1)
	v_cndmask_b32_e64 v1, v1, v7, s0
	v_dual_mov_b32 v2, 0 :: v_dual_add_nc_u32 v1, s24, v1
	s_delay_alu instid0(VALU_DEP_1) | instskip(NEXT) | instid1(VALU_DEP_1)
	v_lshlrev_b64 v[1:2], 2, v[1:2]
	v_add_co_u32 v1, vcc_lo, s12, v1
	s_delay_alu instid0(VALU_DEP_2)
	v_add_co_ci_u32_e32 v2, vcc_lo, s13, v2, vcc_lo
	global_load_b32 v4, v[1:2], off
.LBB7_13:
	v_cndmask_b32_e64 v16, 0, 1, s17
	s_and_not1_b32 vcc_lo, exec_lo, s17
	s_cbranch_vccnz .LBB7_15
; %bb.14:
	v_add_nc_u32_e32 v1, 1, v8
	s_xor_b32 s0, s0, -1
	s_cbranch_execz .LBB7_16
	s_branch .LBB7_17
.LBB7_15:
                                        ; implicit-def: $vgpr1
	s_xor_b32 s0, s0, -1
.LBB7_16:
	v_mul_lo_u32 v1, s2, v6
	s_delay_alu instid0(VALU_DEP_1)
	v_add3_u32 v1, v1, s2, v0
.LBB7_17:
	v_cndmask_b32_e64 v17, 0, 1, s0
	s_and_not1_b32 vcc_lo, exec_lo, s0
	s_cbranch_vccnz .LBB7_19
; %bb.18:
	v_mul_lo_u32 v2, s3, v6
	s_delay_alu instid0(VALU_DEP_1)
	v_add3_u32 v2, v2, s3, v0
	s_cbranch_execz .LBB7_20
	s_branch .LBB7_21
.LBB7_19:
                                        ; implicit-def: $vgpr2
.LBB7_20:
	v_add_nc_u32_e32 v2, 1, v7
.LBB7_21:
	v_cndmask_b32_e64 v18, 0, 1, s10
	v_dual_mov_b32 v15, 0 :: v_dual_mov_b32 v14, 0
	s_and_not1_b32 vcc_lo, exec_lo, s10
	s_cbranch_vccnz .LBB7_23
; %bb.22:
	v_dual_mov_b32 v20, 0 :: v_dual_add_nc_u32 v19, s24, v1
	s_delay_alu instid0(VALU_DEP_1) | instskip(NEXT) | instid1(VALU_DEP_1)
	v_lshlrev_b64 v[19:20], 2, v[19:20]
	v_add_co_u32 v19, vcc_lo, s6, v19
	s_delay_alu instid0(VALU_DEP_2)
	v_add_co_ci_u32_e32 v20, vcc_lo, s7, v20, vcc_lo
	global_load_b32 v14, v[19:20], off
.LBB7_23:
	v_cndmask_b32_e64 v19, 0, 1, s9
	s_and_not1_b32 vcc_lo, exec_lo, s9
	s_cbranch_vccnz .LBB7_25
; %bb.24:
	v_dual_mov_b32 v2, 0 :: v_dual_add_nc_u32 v1, s24, v2
	s_delay_alu instid0(VALU_DEP_1) | instskip(NEXT) | instid1(VALU_DEP_1)
	v_lshlrev_b64 v[1:2], 2, v[1:2]
	v_add_co_u32 v1, vcc_lo, s12, v1
	s_delay_alu instid0(VALU_DEP_2)
	v_add_co_ci_u32_e32 v2, vcc_lo, s13, v2, vcc_lo
	global_load_b32 v15, v[1:2], off
.LBB7_25:
	v_cmp_ne_u32_e32 vcc_lo, 1, v16
	s_cbranch_vccnz .LBB7_27
; %bb.26:
	v_add_nc_u32_e32 v1, 2, v8
	v_add_nc_u32_e32 v20, 2, v6
	s_cbranch_execz .LBB7_28
	s_branch .LBB7_29
.LBB7_27:
                                        ; implicit-def: $vgpr1
	v_add_nc_u32_e32 v20, 2, v6
.LBB7_28:
	s_delay_alu instid0(VALU_DEP_1)
	v_mad_u64_u32 v[1:2], null, v20, s2, v[0:1]
.LBB7_29:
	v_cmp_ne_u32_e32 vcc_lo, 1, v17
	s_cbranch_vccnz .LBB7_31
; %bb.30:
	s_delay_alu instid0(VALU_DEP_2)
	v_mad_u64_u32 v[2:3], null, v20, s3, v[0:1]
	s_cbranch_execz .LBB7_32
	s_branch .LBB7_33
.LBB7_31:
                                        ; implicit-def: $vgpr2
.LBB7_32:
	v_add_nc_u32_e32 v2, 2, v7
.LBB7_33:
	v_cmp_ne_u32_e32 vcc_lo, 1, v18
	v_dual_mov_b32 v21, 0 :: v_dual_mov_b32 v20, 0
	s_cbranch_vccnz .LBB7_35
; %bb.34:
	v_dual_mov_b32 v23, 0 :: v_dual_add_nc_u32 v22, s24, v1
	s_delay_alu instid0(VALU_DEP_1) | instskip(NEXT) | instid1(VALU_DEP_1)
	v_lshlrev_b64 v[22:23], 2, v[22:23]
	v_add_co_u32 v22, vcc_lo, s6, v22
	s_delay_alu instid0(VALU_DEP_2)
	v_add_co_ci_u32_e32 v23, vcc_lo, s7, v23, vcc_lo
	global_load_b32 v20, v[22:23], off
.LBB7_35:
	v_cmp_ne_u32_e32 vcc_lo, 1, v19
	s_cbranch_vccnz .LBB7_37
; %bb.36:
	v_dual_mov_b32 v2, 0 :: v_dual_add_nc_u32 v1, s24, v2
	s_delay_alu instid0(VALU_DEP_1) | instskip(NEXT) | instid1(VALU_DEP_1)
	v_lshlrev_b64 v[1:2], 2, v[1:2]
	v_add_co_u32 v1, vcc_lo, s12, v1
	s_delay_alu instid0(VALU_DEP_2)
	v_add_co_ci_u32_e32 v2, vcc_lo, s13, v2, vcc_lo
	global_load_b32 v21, v[1:2], off
.LBB7_37:
	v_cmp_ne_u32_e32 vcc_lo, 1, v16
	s_cbranch_vccnz .LBB7_39
; %bb.38:
	v_add_nc_u32_e32 v1, 3, v8
	v_add_nc_u32_e32 v6, 3, v6
	s_cbranch_execz .LBB7_40
	s_branch .LBB7_41
.LBB7_39:
                                        ; implicit-def: $vgpr1
	v_add_nc_u32_e32 v6, 3, v6
.LBB7_40:
	s_delay_alu instid0(VALU_DEP_1)
	v_mad_u64_u32 v[1:2], null, v6, s2, v[0:1]
.LBB7_41:
	v_cmp_ne_u32_e32 vcc_lo, 1, v17
	s_cbranch_vccnz .LBB7_43
; %bb.42:
	s_delay_alu instid0(VALU_DEP_2)
	v_mad_u64_u32 v[2:3], null, v6, s3, v[0:1]
	s_cbranch_execz .LBB7_44
	s_branch .LBB7_45
.LBB7_43:
                                        ; implicit-def: $vgpr2
.LBB7_44:
	v_add_nc_u32_e32 v2, 3, v7
.LBB7_45:
	v_cmp_ne_u32_e32 vcc_lo, 1, v18
	v_dual_mov_b32 v6, 0 :: v_dual_mov_b32 v3, 0
	s_cbranch_vccnz .LBB7_47
; %bb.46:
	v_dual_mov_b32 v8, 0 :: v_dual_add_nc_u32 v7, s24, v1
	s_delay_alu instid0(VALU_DEP_1) | instskip(NEXT) | instid1(VALU_DEP_1)
	v_lshlrev_b64 v[7:8], 2, v[7:8]
	v_add_co_u32 v7, vcc_lo, s6, v7
	s_delay_alu instid0(VALU_DEP_2)
	v_add_co_ci_u32_e32 v8, vcc_lo, s7, v8, vcc_lo
	global_load_b32 v3, v[7:8], off
.LBB7_47:
	v_cmp_ne_u32_e32 vcc_lo, 1, v19
	s_cbranch_vccnz .LBB7_49
; %bb.48:
	v_dual_mov_b32 v2, 0 :: v_dual_add_nc_u32 v1, s24, v2
	s_delay_alu instid0(VALU_DEP_1) | instskip(NEXT) | instid1(VALU_DEP_1)
	v_lshlrev_b64 v[1:2], 2, v[1:2]
	v_add_co_u32 v1, vcc_lo, s12, v1
	s_delay_alu instid0(VALU_DEP_2)
	v_add_co_ci_u32_e32 v2, vcc_lo, s13, v2, vcc_lo
	global_load_b32 v6, v[1:2], off
.LBB7_49:
	s_waitcnt vmcnt(0)
	v_dual_mul_f32 v16, s16, v4 :: v_dual_mul_f32 v1, s16, v15
	v_mul_f32_e32 v4, s16, v21
	v_mul_f32_e32 v8, s16, v6
	s_mov_b32 s0, exec_lo
	s_delay_alu instid0(VALU_DEP_3) | instskip(NEXT) | instid1(VALU_DEP_3)
	v_dual_fmac_f32 v16, s15, v5 :: v_dual_fmac_f32 v1, s15, v14
	v_fmac_f32_e32 v4, s15, v20
	s_delay_alu instid0(VALU_DEP_3)
	v_fmac_f32_e32 v8, s15, v3
	v_cmpx_ge_u32_e64 s1, v12
	s_xor_b32 s0, exec_lo, s0
	s_cbranch_execz .LBB7_51
; %bb.50:
	v_mul_lo_u32 v0, v0, s8
	s_delay_alu instid0(VALU_DEP_1) | instskip(NEXT) | instid1(VALU_DEP_1)
	v_add3_u32 v0, v9, s24, v0
	v_sub_nc_u32_e32 v2, v0, v13
	v_mov_b32_e32 v3, 0
                                        ; implicit-def: $vgpr13
	s_delay_alu instid0(VALU_DEP_2) | instskip(NEXT) | instid1(VALU_DEP_2)
	v_add_nc_u32_e32 v5, 1, v2
	v_lshlrev_b64 v[11:12], 2, v[2:3]
	v_add_nc_u32_e32 v9, 2, v2
	v_add_nc_u32_e32 v2, 3, v2
	v_mov_b32_e32 v6, v3
	v_mov_b32_e32 v10, v3
	v_add_co_u32 v11, vcc_lo, s4, v11
	s_delay_alu instid0(VALU_DEP_3) | instskip(NEXT) | instid1(VALU_DEP_3)
	v_lshlrev_b64 v[5:6], 2, v[5:6]
	v_lshlrev_b64 v[9:10], 2, v[9:10]
	v_add_co_ci_u32_e32 v12, vcc_lo, s5, v12, vcc_lo
	v_lshlrev_b64 v[2:3], 2, v[2:3]
	s_delay_alu instid0(VALU_DEP_4)
	v_add_co_u32 v5, vcc_lo, s4, v5
	v_add_co_ci_u32_e32 v6, vcc_lo, s5, v6, vcc_lo
	v_add_co_u32 v9, vcc_lo, s4, v9
	v_add_co_ci_u32_e32 v10, vcc_lo, s5, v10, vcc_lo
	;; [unrolled: 2-line block ×3, first 2 shown]
	s_clause 0x3
	global_store_b32 v[11:12], v16, off
	global_store_b32 v[5:6], v1, off
	;; [unrolled: 1-line block ×4, first 2 shown]
                                        ; implicit-def: $vgpr0_vgpr1_vgpr2_vgpr3
                                        ; implicit-def: $vgpr2_vgpr3_vgpr4_vgpr5
                                        ; implicit-def: $vgpr10
                                        ; implicit-def: $vgpr11
                                        ; implicit-def: $vgpr9
                                        ; implicit-def: $vgpr12
                                        ; implicit-def: $vgpr16
                                        ; implicit-def: $vgpr5_vgpr6_vgpr7_vgpr8
.LBB7_51:
	s_and_not1_saveexec_b32 s0, s0
	s_cbranch_execz .LBB7_55
; %bb.52:
	v_cmp_gt_u32_e32 vcc_lo, 4, v13
	s_and_b32 exec_lo, exec_lo, vcc_lo
	s_cbranch_execz .LBB7_55
; %bb.53:
	v_lshl_or_b32 v0, s21, 4, v10
	s_lshl_b32 s0, s14, 4
	v_min_u32_e32 v2, s1, v12
	s_add_i32 s11, s11, s24
	s_mov_b32 s1, 0
	v_subrev_nc_u32_e32 v0, s0, v0
	s_delay_alu instid0(VALU_DEP_1) | instskip(SKIP_1) | instid1(VALU_DEP_1)
	v_mul_lo_u32 v3, s8, v0
	v_sub_nc_u32_e32 v0, v9, v2
	v_add_nc_u32_e32 v0, 3, v0
	s_delay_alu instid0(VALU_DEP_3)
	v_add3_u32 v2, s11, v3, v11
	v_mov_b32_e32 v3, 0
	.p2align	6
.LBB7_54:                               ; =>This Inner Loop Header: Depth=1
	s_delay_alu instid0(VALU_DEP_3) | instskip(NEXT) | instid1(VALU_DEP_2)
	v_add_nc_u32_e32 v0, 1, v0
	v_lshlrev_b64 v[5:6], 2, v[2:3]
	v_add_nc_u32_e32 v2, 1, v2
	s_delay_alu instid0(VALU_DEP_3) | instskip(SKIP_3) | instid1(VALU_DEP_2)
	v_cmp_eq_u32_e32 vcc_lo, 1, v0
	v_cndmask_b32_e32 v7, v16, v1, vcc_lo
	v_cmp_eq_u32_e64 s0, 2, v0
	v_cmp_lt_u32_e32 vcc_lo, 2, v0
	v_cndmask_b32_e64 v7, v7, v4, s0
	v_add_co_u32 v5, s0, s4, v5
	s_delay_alu instid0(VALU_DEP_1) | instskip(SKIP_2) | instid1(VALU_DEP_1)
	v_add_co_ci_u32_e64 v6, s0, s5, v6, s0
	v_cmp_eq_u32_e64 s0, 3, v0
	s_or_b32 s1, vcc_lo, s1
	v_cndmask_b32_e64 v7, v7, v8, s0
	global_store_b32 v[5:6], v7, off
	s_and_not1_b32 exec_lo, exec_lo, s1
	s_cbranch_execnz .LBB7_54
.LBB7_55:
	s_endpgm
	.section	.rodata,"a",@progbits
	.p2align	6, 0x0
	.amdhsa_kernel Transform_S_S_101_16_16_VW_4
		.amdhsa_group_segment_fixed_size 0
		.amdhsa_private_segment_fixed_size 64
		.amdhsa_kernarg_size 344
		.amdhsa_user_sgpr_count 14
		.amdhsa_user_sgpr_dispatch_ptr 0
		.amdhsa_user_sgpr_queue_ptr 0
		.amdhsa_user_sgpr_kernarg_segment_ptr 1
		.amdhsa_user_sgpr_dispatch_id 0
		.amdhsa_user_sgpr_private_segment_size 0
		.amdhsa_wavefront_size32 1
		.amdhsa_uses_dynamic_stack 0
		.amdhsa_enable_private_segment 1
		.amdhsa_system_sgpr_workgroup_id_x 1
		.amdhsa_system_sgpr_workgroup_id_y 0
		.amdhsa_system_sgpr_workgroup_id_z 1
		.amdhsa_system_sgpr_workgroup_info 0
		.amdhsa_system_vgpr_workitem_id 0
		.amdhsa_next_free_vgpr 42
		.amdhsa_next_free_sgpr 34
		.amdhsa_reserve_vcc 1
		.amdhsa_float_round_mode_32 0
		.amdhsa_float_round_mode_16_64 0
		.amdhsa_float_denorm_mode_32 3
		.amdhsa_float_denorm_mode_16_64 3
		.amdhsa_dx10_clamp 1
		.amdhsa_ieee_mode 1
		.amdhsa_fp16_overflow 0
		.amdhsa_workgroup_processor_mode 1
		.amdhsa_memory_ordered 1
		.amdhsa_forward_progress 0
		.amdhsa_shared_vgpr_count 0
		.amdhsa_exception_fp_ieee_invalid_op 0
		.amdhsa_exception_fp_denorm_src 0
		.amdhsa_exception_fp_ieee_div_zero 0
		.amdhsa_exception_fp_ieee_overflow 0
		.amdhsa_exception_fp_ieee_underflow 0
		.amdhsa_exception_fp_ieee_inexact 0
		.amdhsa_exception_int_div_zero 0
	.end_amdhsa_kernel
	.text
.Lfunc_end7:
	.size	Transform_S_S_101_16_16_VW_4, .Lfunc_end7-Transform_S_S_101_16_16_VW_4
                                        ; -- End function
	.section	.AMDGPU.csdata,"",@progbits
; Kernel info:
; codeLenInByte = 1768
; NumSgprs: 36
; NumVgprs: 42
; ScratchSize: 64
; MemoryBound: 0
; FloatMode: 240
; IeeeMode: 1
; LDSByteSize: 0 bytes/workgroup (compile time only)
; SGPRBlocks: 4
; VGPRBlocks: 5
; NumSGPRsForWavesPerEU: 36
; NumVGPRsForWavesPerEU: 42
; Occupancy: 16
; WaveLimiterHint : 1
; COMPUTE_PGM_RSRC2:SCRATCH_EN: 1
; COMPUTE_PGM_RSRC2:USER_SGPR: 14
; COMPUTE_PGM_RSRC2:TRAP_HANDLER: 0
; COMPUTE_PGM_RSRC2:TGID_X_EN: 1
; COMPUTE_PGM_RSRC2:TGID_Y_EN: 0
; COMPUTE_PGM_RSRC2:TGID_Z_EN: 1
; COMPUTE_PGM_RSRC2:TIDIG_COMP_CNT: 0
	.text
	.protected	Transform_S_S_100_16_16_VW_1 ; -- Begin function Transform_S_S_100_16_16_VW_1
	.globl	Transform_S_S_100_16_16_VW_1
	.p2align	8
	.type	Transform_S_S_100_16_16_VW_1,@function
Transform_S_S_100_16_16_VW_1:           ; @Transform_S_S_100_16_16_VW_1
; %bb.0:
	s_mov_b64 s[22:23], s[0:1]
	s_load_b32 s0, s[0:1], 0x64
	v_mov_b32_e32 v41, v0
	s_mov_b32 s21, s15
	s_mov_b32 s24, s14
	;; [unrolled: 1-line block ×3, first 2 shown]
	s_waitcnt lgkmcnt(0)
	v_cmp_eq_u16_e64 s0, 0x100, s0
	s_delay_alu instid0(VALU_DEP_1)
	s_and_b32 vcc_lo, exec_lo, s0
	s_mov_b32 s0, -1
	s_cbranch_vccnz .LBB8_2
; %bb.1:
	s_add_u32 s8, s22, 0x58
	s_addc_u32 s9, s23, 0
	s_getpc_b64 s[0:1]
	s_add_u32 s0, s0, __PRETTY_FUNCTION__._ZN10amd_detail9transformIffLb1ELb0ELb0ELj16ELj16ELj1EEEvPT_PKS1_S4_T0_PKS5_S5_S7_jjjjjjbb@rel32@lo+4
	s_addc_u32 s1, s1, __PRETTY_FUNCTION__._ZN10amd_detail9transformIffLb1ELb0ELb0ELj16ELj16ELj1EEEvPT_PKS1_S4_T0_PKS5_S5_S7_jjjjjjbb@rel32@hi+12
	s_delay_alu instid0(SALU_CYCLE_1) | instskip(SKIP_3) | instid1(SALU_CYCLE_1)
	v_dual_mov_b32 v0, s0 :: v_dual_mov_b32 v1, s1
	s_getpc_b64 s[2:3]
	s_add_u32 s2, s2, __assert_fail@rel32@lo+4
	s_addc_u32 s3, s3, __assert_fail@rel32@hi+12
	s_swappc_b64 s[30:31], s[2:3]
	; divergent unreachable
	s_mov_b32 s0, 0
.LBB8_2:
	s_delay_alu instid0(SALU_CYCLE_1)
	s_and_not1_b32 vcc_lo, exec_lo, s0
	s_cbranch_vccnz .LBB8_14
; %bb.3:
	s_load_b256 s[0:7], s[22:23], 0x38
	s_waitcnt lgkmcnt(0)
	s_and_b32 s7, s0, 15
	s_lshr_b32 s8, s0, 4
	s_cmp_lg_u32 s7, 0
	s_cselect_b32 s7, -1, 0
	s_delay_alu instid0(SALU_CYCLE_1) | instskip(SKIP_4) | instid1(VALU_DEP_1)
	s_cmp_lg_u32 s7, 0
	s_addc_u32 s10, s8, 0
	s_load_b64 s[8:9], s[22:23], 0x20
	v_cvt_f32_u32_e32 v0, s10
	s_sub_i32 s11, 0, s10
	v_rcp_iflag_f32_e32 v0, v0
	s_waitcnt_depctr 0xfff
	v_mul_f32_e32 v0, 0x4f7ffffe, v0
	s_delay_alu instid0(VALU_DEP_1) | instskip(NEXT) | instid1(VALU_DEP_1)
	v_cvt_u32_f32_e32 v0, v0
	v_readfirstlane_b32 s7, v0
	s_delay_alu instid0(VALU_DEP_1) | instskip(NEXT) | instid1(SALU_CYCLE_1)
	s_mul_i32 s11, s11, s7
	s_mul_hi_u32 s11, s7, s11
	s_delay_alu instid0(SALU_CYCLE_1)
	s_add_i32 s7, s7, s11
	s_waitcnt lgkmcnt(0)
	s_cmp_eq_u64 s[8:9], 0
	s_mul_hi_u32 s11, s24, s7
	s_cbranch_scc1 .LBB8_6
; %bb.4:
	s_load_b32 s7, s[8:9], 0x0
	s_load_b64 s[8:9], s[22:23], 0x30
	s_waitcnt lgkmcnt(0)
	s_cmp_eq_u64 s[8:9], 0
	s_cbranch_scc1 .LBB8_7
.LBB8_5:
	s_load_b32 s12, s[8:9], 0x0
	s_branch .LBB8_8
.LBB8_6:
	s_clause 0x1
	s_load_b32 s7, s[22:23], 0x18
	s_load_b64 s[8:9], s[22:23], 0x30
	s_waitcnt lgkmcnt(0)
	s_cmp_eq_u64 s[8:9], 0
	s_cbranch_scc0 .LBB8_5
.LBB8_7:
	s_load_b32 s12, s[22:23], 0x28
.LBB8_8:
	s_mul_i32 s8, s11, s10
	s_add_i32 s9, s11, 1
	s_sub_i32 s8, s24, s8
	v_and_b32_e32 v0, 15, v41
	s_sub_i32 s13, s8, s10
	s_cmp_ge_u32 s8, s10
	v_lshrrev_b32_e32 v1, 4, v41
	s_cselect_b32 s9, s9, s11
	s_cselect_b32 s8, s13, s8
	s_add_i32 s11, s9, 1
	s_cmp_ge_u32 s8, s10
	s_cselect_b32 s8, s11, s9
	s_delay_alu instid0(SALU_CYCLE_1) | instskip(SKIP_2) | instid1(SALU_CYCLE_1)
	s_mul_i32 s9, s8, s10
	v_lshl_add_u32 v1, s8, 4, v1
	s_sub_i32 s9, s24, s9
	v_lshl_or_b32 v0, s9, 4, v0
	s_delay_alu instid0(VALU_DEP_1) | instskip(NEXT) | instid1(VALU_DEP_3)
	v_cmp_gt_u32_e32 vcc_lo, s0, v0
	v_cmp_gt_u32_e64 s0, s1, v1
	s_delay_alu instid0(VALU_DEP_1) | instskip(NEXT) | instid1(SALU_CYCLE_1)
	s_and_b32 s0, vcc_lo, s0
	s_and_saveexec_b32 s1, s0
	s_cbranch_execz .LBB8_14
; %bb.9:
	s_clause 0x1
	s_load_b128 s[8:11], s[22:23], 0x0
	s_load_b64 s[0:1], s[22:23], 0x10
	v_dual_mov_b32 v3, 0 :: v_dual_mov_b32 v2, 0
	s_mul_i32 s21, s21, s5
	s_waitcnt lgkmcnt(0)
	s_cmp_eq_u64 s[10:11], 0
	s_cbranch_scc1 .LBB8_11
; %bb.10:
	s_bitcmp1_b32 s6, 0
	v_mov_b32_e32 v5, 0
	s_cselect_b32 vcc_lo, -1, 0
	v_cndmask_b32_e32 v2, v0, v1, vcc_lo
	v_cndmask_b32_e32 v4, v1, v0, vcc_lo
	s_delay_alu instid0(VALU_DEP_2) | instskip(NEXT) | instid1(VALU_DEP_1)
	v_mul_lo_u32 v2, v2, s2
	v_add3_u32 v4, v4, s21, v2
	s_delay_alu instid0(VALU_DEP_1) | instskip(NEXT) | instid1(VALU_DEP_1)
	v_lshlrev_b64 v[4:5], 2, v[4:5]
	v_add_co_u32 v4, vcc_lo, s10, v4
	s_delay_alu instid0(VALU_DEP_2)
	v_add_co_ci_u32_e32 v5, vcc_lo, s11, v5, vcc_lo
	global_load_b32 v2, v[4:5], off
.LBB8_11:
	s_cmp_eq_u64 s[0:1], 0
	s_cbranch_scc1 .LBB8_13
; %bb.12:
	s_load_b32 s2, s[22:23], 0x50
	v_mov_b32_e32 v4, 0
	s_waitcnt lgkmcnt(0)
	s_bitcmp1_b32 s2, 8
	s_cselect_b32 vcc_lo, -1, 0
	v_cndmask_b32_e32 v3, v1, v0, vcc_lo
	v_cndmask_b32_e32 v5, v0, v1, vcc_lo
	s_delay_alu instid0(VALU_DEP_2) | instskip(NEXT) | instid1(VALU_DEP_1)
	v_mul_lo_u32 v3, v3, s3
	v_add3_u32 v3, v5, s21, v3
	s_delay_alu instid0(VALU_DEP_1) | instskip(NEXT) | instid1(VALU_DEP_1)
	v_lshlrev_b64 v[3:4], 2, v[3:4]
	v_add_co_u32 v3, vcc_lo, s0, v3
	s_delay_alu instid0(VALU_DEP_2)
	v_add_co_ci_u32_e32 v4, vcc_lo, s1, v4, vcc_lo
	global_load_b32 v3, v[3:4], off
.LBB8_13:
	v_mul_lo_u32 v4, v1, s4
	v_mov_b32_e32 v1, 0
	s_waitcnt vmcnt(0)
	v_mul_f32_e32 v3, s12, v3
	s_delay_alu instid0(VALU_DEP_1) | instskip(NEXT) | instid1(VALU_DEP_4)
	v_fmac_f32_e32 v3, s7, v2
	v_add3_u32 v0, v0, s21, v4
	s_delay_alu instid0(VALU_DEP_1) | instskip(NEXT) | instid1(VALU_DEP_1)
	v_lshlrev_b64 v[0:1], 2, v[0:1]
	v_add_co_u32 v0, vcc_lo, s8, v0
	s_delay_alu instid0(VALU_DEP_2)
	v_add_co_ci_u32_e32 v1, vcc_lo, s9, v1, vcc_lo
	global_store_b32 v[0:1], v3, off
.LBB8_14:
	s_endpgm
	.section	.rodata,"a",@progbits
	.p2align	6, 0x0
	.amdhsa_kernel Transform_S_S_100_16_16_VW_1
		.amdhsa_group_segment_fixed_size 0
		.amdhsa_private_segment_fixed_size 64
		.amdhsa_kernarg_size 344
		.amdhsa_user_sgpr_count 14
		.amdhsa_user_sgpr_dispatch_ptr 0
		.amdhsa_user_sgpr_queue_ptr 0
		.amdhsa_user_sgpr_kernarg_segment_ptr 1
		.amdhsa_user_sgpr_dispatch_id 0
		.amdhsa_user_sgpr_private_segment_size 0
		.amdhsa_wavefront_size32 1
		.amdhsa_uses_dynamic_stack 0
		.amdhsa_enable_private_segment 1
		.amdhsa_system_sgpr_workgroup_id_x 1
		.amdhsa_system_sgpr_workgroup_id_y 0
		.amdhsa_system_sgpr_workgroup_id_z 1
		.amdhsa_system_sgpr_workgroup_info 0
		.amdhsa_system_vgpr_workitem_id 0
		.amdhsa_next_free_vgpr 42
		.amdhsa_next_free_sgpr 34
		.amdhsa_reserve_vcc 1
		.amdhsa_float_round_mode_32 0
		.amdhsa_float_round_mode_16_64 0
		.amdhsa_float_denorm_mode_32 3
		.amdhsa_float_denorm_mode_16_64 3
		.amdhsa_dx10_clamp 1
		.amdhsa_ieee_mode 1
		.amdhsa_fp16_overflow 0
		.amdhsa_workgroup_processor_mode 1
		.amdhsa_memory_ordered 1
		.amdhsa_forward_progress 0
		.amdhsa_shared_vgpr_count 0
		.amdhsa_exception_fp_ieee_invalid_op 0
		.amdhsa_exception_fp_denorm_src 0
		.amdhsa_exception_fp_ieee_div_zero 0
		.amdhsa_exception_fp_ieee_overflow 0
		.amdhsa_exception_fp_ieee_underflow 0
		.amdhsa_exception_fp_ieee_inexact 0
		.amdhsa_exception_int_div_zero 0
	.end_amdhsa_kernel
	.text
.Lfunc_end8:
	.size	Transform_S_S_100_16_16_VW_1, .Lfunc_end8-Transform_S_S_100_16_16_VW_1
                                        ; -- End function
	.section	.AMDGPU.csdata,"",@progbits
; Kernel info:
; codeLenInByte = 744
; NumSgprs: 36
; NumVgprs: 42
; ScratchSize: 64
; MemoryBound: 0
; FloatMode: 240
; IeeeMode: 1
; LDSByteSize: 0 bytes/workgroup (compile time only)
; SGPRBlocks: 4
; VGPRBlocks: 5
; NumSGPRsForWavesPerEU: 36
; NumVGPRsForWavesPerEU: 42
; Occupancy: 16
; WaveLimiterHint : 1
; COMPUTE_PGM_RSRC2:SCRATCH_EN: 1
; COMPUTE_PGM_RSRC2:USER_SGPR: 14
; COMPUTE_PGM_RSRC2:TRAP_HANDLER: 0
; COMPUTE_PGM_RSRC2:TGID_X_EN: 1
; COMPUTE_PGM_RSRC2:TGID_Y_EN: 0
; COMPUTE_PGM_RSRC2:TGID_Z_EN: 1
; COMPUTE_PGM_RSRC2:TIDIG_COMP_CNT: 0
	.text
	.protected	Transform_S_S_100_16_16_VW_4 ; -- Begin function Transform_S_S_100_16_16_VW_4
	.globl	Transform_S_S_100_16_16_VW_4
	.p2align	8
	.type	Transform_S_S_100_16_16_VW_4,@function
Transform_S_S_100_16_16_VW_4:           ; @Transform_S_S_100_16_16_VW_4
; %bb.0:
	s_mov_b64 s[22:23], s[0:1]
	s_load_b32 s0, s[0:1], 0x64
	v_mov_b32_e32 v41, v0
	s_mov_b32 s24, s15
	s_mov_b32 s21, s14
	;; [unrolled: 1-line block ×3, first 2 shown]
	s_waitcnt lgkmcnt(0)
	v_cmp_eq_u16_e64 s0, 0x100, s0
	s_delay_alu instid0(VALU_DEP_1)
	s_and_b32 vcc_lo, exec_lo, s0
	s_mov_b32 s0, -1
	s_cbranch_vccnz .LBB9_2
; %bb.1:
	s_add_u32 s8, s22, 0x58
	s_addc_u32 s9, s23, 0
	s_getpc_b64 s[0:1]
	s_add_u32 s0, s0, __PRETTY_FUNCTION__._ZN10amd_detail9transformIffLb1ELb0ELb0ELj16ELj16ELj4EEEvPT_PKS1_S4_T0_PKS5_S5_S7_jjjjjjbb@rel32@lo+4
	s_addc_u32 s1, s1, __PRETTY_FUNCTION__._ZN10amd_detail9transformIffLb1ELb0ELb0ELj16ELj16ELj4EEEvPT_PKS1_S4_T0_PKS5_S5_S7_jjjjjjbb@rel32@hi+12
	s_delay_alu instid0(SALU_CYCLE_1) | instskip(SKIP_3) | instid1(SALU_CYCLE_1)
	v_dual_mov_b32 v0, s0 :: v_dual_mov_b32 v1, s1
	s_getpc_b64 s[2:3]
	s_add_u32 s2, s2, __assert_fail@rel32@lo+4
	s_addc_u32 s3, s3, __assert_fail@rel32@hi+12
	s_swappc_b64 s[30:31], s[2:3]
	; divergent unreachable
	s_mov_b32 s0, 0
.LBB9_2:
	s_delay_alu instid0(SALU_CYCLE_1)
	s_and_not1_b32 vcc_lo, exec_lo, s0
	s_cbranch_vccnz .LBB9_55
; %bb.3:
	s_load_b256 s[4:11], s[22:23], 0x38
	s_waitcnt lgkmcnt(0)
	s_and_b32 s0, s4, 63
	s_lshr_b32 s1, s4, 6
	s_cmp_lg_u32 s0, 0
	s_cselect_b32 s0, -1, 0
	s_delay_alu instid0(SALU_CYCLE_1) | instskip(SKIP_4) | instid1(VALU_DEP_1)
	s_cmp_lg_u32 s0, 0
	s_addc_u32 s2, s1, 0
	s_load_b64 s[0:1], s[22:23], 0x20
	v_cvt_f32_u32_e32 v0, s2
	s_sub_i32 s11, 0, s2
	v_rcp_iflag_f32_e32 v0, v0
	s_waitcnt_depctr 0xfff
	v_mul_f32_e32 v0, 0x4f7ffffe, v0
	s_delay_alu instid0(VALU_DEP_1) | instskip(NEXT) | instid1(VALU_DEP_1)
	v_cvt_u32_f32_e32 v0, v0
	v_readfirstlane_b32 s3, v0
	s_delay_alu instid0(VALU_DEP_1) | instskip(NEXT) | instid1(SALU_CYCLE_1)
	s_mul_i32 s11, s11, s3
	s_mul_hi_u32 s11, s3, s11
	s_delay_alu instid0(SALU_CYCLE_1)
	s_add_i32 s3, s3, s11
	s_waitcnt lgkmcnt(0)
	s_cmp_eq_u64 s[0:1], 0
	s_mul_hi_u32 s3, s21, s3
	s_cbranch_scc1 .LBB9_6
; %bb.4:
	s_load_b32 s11, s[0:1], 0x0
	s_load_b64 s[0:1], s[22:23], 0x30
	s_waitcnt lgkmcnt(0)
	s_cmp_eq_u64 s[0:1], 0
	s_cbranch_scc1 .LBB9_7
.LBB9_5:
	s_load_b32 s16, s[0:1], 0x0
	s_branch .LBB9_8
.LBB9_6:
	s_clause 0x1
	s_load_b32 s11, s[22:23], 0x18
	s_load_b64 s[0:1], s[22:23], 0x30
	s_waitcnt lgkmcnt(0)
	s_cmp_eq_u64 s[0:1], 0
	s_cbranch_scc0 .LBB9_5
.LBB9_7:
	s_load_b32 s16, s[22:23], 0x28
.LBB9_8:
	s_mul_i32 s0, s3, s2
	s_add_i32 s1, s3, 1
	s_sub_i32 s0, s21, s0
	v_lshrrev_b32_e32 v0, 4, v41
	s_sub_i32 s12, s0, s2
	s_cmp_ge_u32 s0, s2
	s_cselect_b32 s1, s1, s3
	s_cselect_b32 s0, s12, s0
	s_add_i32 s3, s1, 1
	s_cmp_ge_u32 s0, s2
	s_mov_b32 s0, exec_lo
	s_cselect_b32 s1, s3, s1
	s_delay_alu instid0(SALU_CYCLE_1) | instskip(NEXT) | instid1(VALU_DEP_1)
	v_lshl_add_u32 v0, s1, 4, v0
	v_cmpx_gt_u32_e64 s5, v0
	s_cbranch_execz .LBB9_55
; %bb.9:
	v_dual_mov_b32 v8, 0 :: v_dual_lshlrev_b32 v1, 2, v41
	s_mul_i32 s1, s1, s2
	s_clause 0x1
	s_load_b128 s[12:15], s[22:23], 0x0
	s_load_b64 s[2:3], s[22:23], 0x10
	v_dual_mov_b32 v12, 0 :: v_dual_and_b32 v9, 60, v1
	s_sub_i32 s0, s21, s1
	s_bitcmp1_b32 s10, 0
	s_mul_i32 s24, s24, s9
	s_delay_alu instid0(VALU_DEP_1) | instskip(SKIP_1) | instid1(VALU_DEP_1)
	v_lshl_or_b32 v7, s0, 6, v9
	s_cselect_b32 vcc_lo, -1, 0
	v_add_nc_u32_e32 v11, 4, v7
	s_delay_alu instid0(VALU_DEP_1) | instskip(SKIP_3) | instid1(VALU_DEP_1)
	v_sub_nc_u32_e64 v10, v11, s4 clamp
	s_waitcnt lgkmcnt(0)
	s_cmp_lg_u64 s[14:15], 0
	s_cselect_b32 s5, -1, 0
	v_sub_nc_u32_e32 v3, v7, v10
	s_cmp_eq_u64 s[14:15], 0
	s_delay_alu instid0(VALU_DEP_1)
	v_mad_u64_u32 v[1:2], null, v0, s6, v[3:4]
	s_cbranch_scc1 .LBB9_11
; %bb.10:
	s_delay_alu instid0(VALU_DEP_1) | instskip(NEXT) | instid1(VALU_DEP_1)
	v_mad_u64_u32 v[4:5], null, v3, s6, v[0:1]
	v_dual_mov_b32 v5, 0 :: v_dual_cndmask_b32 v2, v4, v1
	s_delay_alu instid0(VALU_DEP_1) | instskip(NEXT) | instid1(VALU_DEP_1)
	v_add_nc_u32_e32 v4, s24, v2
	v_lshlrev_b64 v[4:5], 2, v[4:5]
	s_delay_alu instid0(VALU_DEP_1) | instskip(NEXT) | instid1(VALU_DEP_1)
	v_add_co_u32 v4, s0, s14, v4
	v_add_co_ci_u32_e64 v5, s0, s15, v5, s0
	global_load_b32 v12, v[4:5], off
.LBB9_11:
	s_load_b32 s0, s[22:23], 0x50
	v_mad_u64_u32 v[4:5], null, v0, s7, v[3:4]
	v_mul_lo_u32 v13, v3, s7
	s_xor_b32 s10, vcc_lo, -1
	s_waitcnt lgkmcnt(0)
	s_bitcmp1_b32 s0, 8
	s_cselect_b32 s0, -1, 0
	s_cmp_lg_u64 s[2:3], 0
	s_cselect_b32 s9, -1, 0
	s_cmp_eq_u64 s[2:3], 0
	s_cbranch_scc1 .LBB9_13
; %bb.12:
	v_add_nc_u32_e32 v2, v13, v0
	s_delay_alu instid0(VALU_DEP_1) | instskip(NEXT) | instid1(VALU_DEP_1)
	v_cndmask_b32_e64 v2, v4, v2, s0
	v_dual_mov_b32 v6, 0 :: v_dual_add_nc_u32 v5, s24, v2
	s_delay_alu instid0(VALU_DEP_1) | instskip(NEXT) | instid1(VALU_DEP_1)
	v_lshlrev_b64 v[5:6], 2, v[5:6]
	v_add_co_u32 v5, vcc_lo, s2, v5
	s_delay_alu instid0(VALU_DEP_2)
	v_add_co_ci_u32_e32 v6, vcc_lo, s3, v6, vcc_lo
	global_load_b32 v8, v[5:6], off
.LBB9_13:
	v_cndmask_b32_e64 v2, 0, 1, s10
	s_and_not1_b32 vcc_lo, exec_lo, s10
	s_cbranch_vccnz .LBB9_15
; %bb.14:
	v_mul_lo_u32 v5, s6, v3
	s_delay_alu instid0(VALU_DEP_1)
	v_add3_u32 v5, v5, s6, v0
	s_xor_b32 s0, s0, -1
	s_cbranch_execz .LBB9_16
	s_branch .LBB9_17
.LBB9_15:
                                        ; implicit-def: $vgpr5
	s_xor_b32 s0, s0, -1
.LBB9_16:
	v_add_nc_u32_e32 v5, 1, v1
.LBB9_17:
	v_cndmask_b32_e64 v16, 0, 1, s0
	s_and_not1_b32 vcc_lo, exec_lo, s0
	s_cbranch_vccnz .LBB9_19
; %bb.18:
	v_add_nc_u32_e32 v6, 1, v4
	s_cbranch_execz .LBB9_20
	s_branch .LBB9_21
.LBB9_19:
                                        ; implicit-def: $vgpr6
.LBB9_20:
	v_add3_u32 v6, v13, s7, v0
.LBB9_21:
	v_cndmask_b32_e64 v17, 0, 1, s5
	v_dual_mov_b32 v15, 0 :: v_dual_mov_b32 v14, 0
	s_and_not1_b32 vcc_lo, exec_lo, s5
	s_cbranch_vccnz .LBB9_23
; %bb.22:
	v_dual_mov_b32 v19, 0 :: v_dual_add_nc_u32 v18, s24, v5
	s_delay_alu instid0(VALU_DEP_1) | instskip(NEXT) | instid1(VALU_DEP_1)
	v_lshlrev_b64 v[18:19], 2, v[18:19]
	v_add_co_u32 v18, vcc_lo, s14, v18
	s_delay_alu instid0(VALU_DEP_2)
	v_add_co_ci_u32_e32 v19, vcc_lo, s15, v19, vcc_lo
	global_load_b32 v14, v[18:19], off
.LBB9_23:
	v_cndmask_b32_e64 v18, 0, 1, s9
	s_and_not1_b32 vcc_lo, exec_lo, s9
	s_cbranch_vccnz .LBB9_25
; %bb.24:
	v_dual_mov_b32 v6, 0 :: v_dual_add_nc_u32 v5, s24, v6
	s_delay_alu instid0(VALU_DEP_1) | instskip(NEXT) | instid1(VALU_DEP_1)
	v_lshlrev_b64 v[5:6], 2, v[5:6]
	v_add_co_u32 v5, vcc_lo, s2, v5
	s_delay_alu instid0(VALU_DEP_2)
	v_add_co_ci_u32_e32 v6, vcc_lo, s3, v6, vcc_lo
	global_load_b32 v15, v[5:6], off
.LBB9_25:
	v_cmp_ne_u32_e32 vcc_lo, 1, v2
	s_cbranch_vccnz .LBB9_27
; %bb.26:
	v_add_nc_u32_e32 v19, 2, v3
	s_delay_alu instid0(VALU_DEP_1)
	v_mad_u64_u32 v[5:6], null, v19, s6, v[0:1]
	s_cbranch_execz .LBB9_28
	s_branch .LBB9_29
.LBB9_27:
                                        ; implicit-def: $vgpr5
.LBB9_28:
	v_add_nc_u32_e32 v5, 2, v1
.LBB9_29:
	v_cmp_ne_u32_e32 vcc_lo, 1, v16
	s_cbranch_vccnz .LBB9_31
; %bb.30:
	v_add_nc_u32_e32 v20, 2, v4
	s_cbranch_execz .LBB9_32
	s_branch .LBB9_33
.LBB9_31:
                                        ; implicit-def: $vgpr20
.LBB9_32:
	s_lshl_b32 s0, s7, 1
	s_delay_alu instid0(SALU_CYCLE_1)
	v_add3_u32 v20, v13, s0, v0
.LBB9_33:
	v_cmp_ne_u32_e32 vcc_lo, 1, v17
	v_dual_mov_b32 v19, 0 :: v_dual_mov_b32 v6, 0
	s_cbranch_vccnz .LBB9_35
; %bb.34:
	v_dual_mov_b32 v6, 0 :: v_dual_add_nc_u32 v5, s24, v5
	s_delay_alu instid0(VALU_DEP_1) | instskip(NEXT) | instid1(VALU_DEP_1)
	v_lshlrev_b64 v[5:6], 2, v[5:6]
	v_add_co_u32 v5, vcc_lo, s14, v5
	s_delay_alu instid0(VALU_DEP_2)
	v_add_co_ci_u32_e32 v6, vcc_lo, s15, v6, vcc_lo
	global_load_b32 v6, v[5:6], off
.LBB9_35:
	v_cmp_ne_u32_e32 vcc_lo, 1, v18
	s_cbranch_vccnz .LBB9_37
; %bb.36:
	v_dual_mov_b32 v20, 0 :: v_dual_add_nc_u32 v19, s24, v20
	s_delay_alu instid0(VALU_DEP_1) | instskip(NEXT) | instid1(VALU_DEP_1)
	v_lshlrev_b64 v[19:20], 2, v[19:20]
	v_add_co_u32 v19, vcc_lo, s2, v19
	s_delay_alu instid0(VALU_DEP_2)
	v_add_co_ci_u32_e32 v20, vcc_lo, s3, v20, vcc_lo
	global_load_b32 v19, v[19:20], off
.LBB9_37:
	v_cmp_ne_u32_e32 vcc_lo, 1, v2
	s_cbranch_vccnz .LBB9_39
; %bb.38:
	v_add_nc_u32_e32 v5, 3, v3
	s_delay_alu instid0(VALU_DEP_1)
	v_mad_u64_u32 v[2:3], null, v5, s6, v[0:1]
	s_cbranch_execz .LBB9_40
	s_branch .LBB9_41
.LBB9_39:
                                        ; implicit-def: $vgpr2
.LBB9_40:
	v_add_nc_u32_e32 v2, 3, v1
.LBB9_41:
	v_cmp_ne_u32_e32 vcc_lo, 1, v16
	s_cbranch_vccnz .LBB9_43
; %bb.42:
	v_add_nc_u32_e32 v1, 3, v4
	s_cbranch_execz .LBB9_44
	s_branch .LBB9_45
.LBB9_43:
                                        ; implicit-def: $vgpr1
.LBB9_44:
	s_mul_i32 s0, s7, 3
	s_delay_alu instid0(SALU_CYCLE_1)
	v_add3_u32 v1, v13, s0, v0
.LBB9_45:
	v_cmp_ne_u32_e32 vcc_lo, 1, v17
	v_mov_b32_e32 v5, 0
	v_mov_b32_e32 v3, 0
	s_cbranch_vccnz .LBB9_47
; %bb.46:
	v_dual_mov_b32 v3, 0 :: v_dual_add_nc_u32 v2, s24, v2
	s_delay_alu instid0(VALU_DEP_1) | instskip(NEXT) | instid1(VALU_DEP_1)
	v_lshlrev_b64 v[2:3], 2, v[2:3]
	v_add_co_u32 v2, vcc_lo, s14, v2
	s_delay_alu instid0(VALU_DEP_2)
	v_add_co_ci_u32_e32 v3, vcc_lo, s15, v3, vcc_lo
	global_load_b32 v3, v[2:3], off
.LBB9_47:
	v_cmp_ne_u32_e32 vcc_lo, 1, v18
	s_cbranch_vccnz .LBB9_49
; %bb.48:
	v_dual_mov_b32 v2, 0 :: v_dual_add_nc_u32 v1, s24, v1
	s_delay_alu instid0(VALU_DEP_1) | instskip(NEXT) | instid1(VALU_DEP_1)
	v_lshlrev_b64 v[1:2], 2, v[1:2]
	v_add_co_u32 v1, vcc_lo, s2, v1
	s_delay_alu instid0(VALU_DEP_2)
	v_add_co_ci_u32_e32 v2, vcc_lo, s3, v2, vcc_lo
	global_load_b32 v5, v[1:2], off
.LBB9_49:
	s_waitcnt vmcnt(0)
	v_dual_mul_f32 v13, s16, v8 :: v_dual_mul_f32 v4, s16, v19
	v_dual_mul_f32 v1, s16, v15 :: v_dual_mul_f32 v8, s16, v5
	s_mov_b32 s0, exec_lo
	s_delay_alu instid0(VALU_DEP_2) | instskip(SKIP_1) | instid1(VALU_DEP_3)
	v_dual_fmac_f32 v13, s11, v12 :: v_dual_fmac_f32 v4, s11, v6
	v_mul_lo_u32 v12, v0, s8
	v_dual_fmac_f32 v1, s11, v14 :: v_dual_fmac_f32 v8, s11, v3
	v_cmpx_ge_u32_e64 s4, v11
	s_xor_b32 s0, exec_lo, s0
	s_cbranch_execz .LBB9_51
; %bb.50:
	v_dual_mov_b32 v3, 0 :: v_dual_add_nc_u32 v0, s24, v7
	s_delay_alu instid0(VALU_DEP_1) | instskip(NEXT) | instid1(VALU_DEP_1)
	v_sub_nc_u32_e32 v0, v0, v10
	v_add_nc_u32_e32 v2, v0, v12
	s_delay_alu instid0(VALU_DEP_3) | instskip(NEXT) | instid1(VALU_DEP_2)
	v_mov_b32_e32 v6, v3
	v_dual_mov_b32 v10, v3 :: v_dual_add_nc_u32 v9, 2, v2
	v_add_nc_u32_e32 v5, 1, v2
	v_lshlrev_b64 v[11:12], 2, v[2:3]
	v_add_nc_u32_e32 v2, 3, v2
	s_delay_alu instid0(VALU_DEP_4) | instskip(NEXT) | instid1(VALU_DEP_4)
	v_lshlrev_b64 v[9:10], 2, v[9:10]
	v_lshlrev_b64 v[5:6], 2, v[5:6]
	s_delay_alu instid0(VALU_DEP_4) | instskip(SKIP_2) | instid1(VALU_DEP_4)
	v_add_co_u32 v11, vcc_lo, s12, v11
	v_add_co_ci_u32_e32 v12, vcc_lo, s13, v12, vcc_lo
	v_lshlrev_b64 v[2:3], 2, v[2:3]
	v_add_co_u32 v5, vcc_lo, s12, v5
	v_add_co_ci_u32_e32 v6, vcc_lo, s13, v6, vcc_lo
	v_add_co_u32 v9, vcc_lo, s12, v9
	v_add_co_ci_u32_e32 v10, vcc_lo, s13, v10, vcc_lo
	;; [unrolled: 2-line block ×3, first 2 shown]
	s_clause 0x3
	global_store_b32 v[11:12], v13, off
	global_store_b32 v[5:6], v1, off
	global_store_b32 v[9:10], v4, off
	global_store_b32 v[2:3], v8, off
                                        ; implicit-def: $vgpr0_vgpr1_vgpr2_vgpr3
                                        ; implicit-def: $vgpr2_vgpr3_vgpr4_vgpr5
                                        ; implicit-def: $vgpr10
                                        ; implicit-def: $vgpr13
                                        ; implicit-def: $vgpr9
                                        ; implicit-def: $vgpr12
                                        ; implicit-def: $vgpr5_vgpr6_vgpr7_vgpr8
.LBB9_51:
	s_and_not1_saveexec_b32 s0, s0
	s_cbranch_execz .LBB9_55
; %bb.52:
	v_cmp_gt_u32_e32 vcc_lo, 4, v10
	s_and_b32 exec_lo, exec_lo, vcc_lo
	s_cbranch_execz .LBB9_55
; %bb.53:
	v_lshl_or_b32 v0, s21, 6, v9
	s_lshl_b32 s0, s1, 6
	s_mov_b32 s1, 0
	s_delay_alu instid0(VALU_DEP_1) | instskip(SKIP_1) | instid1(VALU_DEP_2)
	v_subrev_nc_u32_e32 v2, s0, v0
	v_add3_u32 v0, s24, v12, v0
	v_add_nc_u32_e32 v3, 4, v2
	s_delay_alu instid0(VALU_DEP_1) | instskip(NEXT) | instid1(VALU_DEP_1)
	v_min_u32_e32 v3, s4, v3
	v_sub_nc_u32_e32 v3, v2, v3
	s_delay_alu instid0(VALU_DEP_4) | instskip(NEXT) | instid1(VALU_DEP_2)
	v_subrev_nc_u32_e32 v2, s0, v0
	v_dual_mov_b32 v3, 0 :: v_dual_add_nc_u32 v0, 3, v3
	.p2align	6
.LBB9_54:                               ; =>This Inner Loop Header: Depth=1
	s_delay_alu instid0(VALU_DEP_1) | instskip(NEXT) | instid1(VALU_DEP_2)
	v_add_nc_u32_e32 v0, 1, v0
	v_lshlrev_b64 v[5:6], 2, v[2:3]
	v_add_nc_u32_e32 v2, 1, v2
	s_delay_alu instid0(VALU_DEP_3) | instskip(SKIP_3) | instid1(VALU_DEP_2)
	v_cmp_eq_u32_e32 vcc_lo, 1, v0
	v_cndmask_b32_e32 v7, v13, v1, vcc_lo
	v_cmp_eq_u32_e64 s0, 2, v0
	v_cmp_lt_u32_e32 vcc_lo, 2, v0
	v_cndmask_b32_e64 v7, v7, v4, s0
	v_add_co_u32 v5, s0, s12, v5
	s_delay_alu instid0(VALU_DEP_1) | instskip(SKIP_2) | instid1(VALU_DEP_1)
	v_add_co_ci_u32_e64 v6, s0, s13, v6, s0
	v_cmp_eq_u32_e64 s0, 3, v0
	s_or_b32 s1, vcc_lo, s1
	v_cndmask_b32_e64 v7, v7, v8, s0
	global_store_b32 v[5:6], v7, off
	s_and_not1_b32 exec_lo, exec_lo, s1
	s_cbranch_execnz .LBB9_54
.LBB9_55:
	s_endpgm
	.section	.rodata,"a",@progbits
	.p2align	6, 0x0
	.amdhsa_kernel Transform_S_S_100_16_16_VW_4
		.amdhsa_group_segment_fixed_size 0
		.amdhsa_private_segment_fixed_size 64
		.amdhsa_kernarg_size 344
		.amdhsa_user_sgpr_count 14
		.amdhsa_user_sgpr_dispatch_ptr 0
		.amdhsa_user_sgpr_queue_ptr 0
		.amdhsa_user_sgpr_kernarg_segment_ptr 1
		.amdhsa_user_sgpr_dispatch_id 0
		.amdhsa_user_sgpr_private_segment_size 0
		.amdhsa_wavefront_size32 1
		.amdhsa_uses_dynamic_stack 0
		.amdhsa_enable_private_segment 1
		.amdhsa_system_sgpr_workgroup_id_x 1
		.amdhsa_system_sgpr_workgroup_id_y 0
		.amdhsa_system_sgpr_workgroup_id_z 1
		.amdhsa_system_sgpr_workgroup_info 0
		.amdhsa_system_vgpr_workitem_id 0
		.amdhsa_next_free_vgpr 42
		.amdhsa_next_free_sgpr 34
		.amdhsa_reserve_vcc 1
		.amdhsa_float_round_mode_32 0
		.amdhsa_float_round_mode_16_64 0
		.amdhsa_float_denorm_mode_32 3
		.amdhsa_float_denorm_mode_16_64 3
		.amdhsa_dx10_clamp 1
		.amdhsa_ieee_mode 1
		.amdhsa_fp16_overflow 0
		.amdhsa_workgroup_processor_mode 1
		.amdhsa_memory_ordered 1
		.amdhsa_forward_progress 0
		.amdhsa_shared_vgpr_count 0
		.amdhsa_exception_fp_ieee_invalid_op 0
		.amdhsa_exception_fp_denorm_src 0
		.amdhsa_exception_fp_ieee_div_zero 0
		.amdhsa_exception_fp_ieee_overflow 0
		.amdhsa_exception_fp_ieee_underflow 0
		.amdhsa_exception_fp_ieee_inexact 0
		.amdhsa_exception_int_div_zero 0
	.end_amdhsa_kernel
	.text
.Lfunc_end9:
	.size	Transform_S_S_100_16_16_VW_4, .Lfunc_end9-Transform_S_S_100_16_16_VW_4
                                        ; -- End function
	.section	.AMDGPU.csdata,"",@progbits
; Kernel info:
; codeLenInByte = 1736
; NumSgprs: 36
; NumVgprs: 42
; ScratchSize: 64
; MemoryBound: 0
; FloatMode: 240
; IeeeMode: 1
; LDSByteSize: 0 bytes/workgroup (compile time only)
; SGPRBlocks: 4
; VGPRBlocks: 5
; NumSGPRsForWavesPerEU: 36
; NumVGPRsForWavesPerEU: 42
; Occupancy: 16
; WaveLimiterHint : 1
; COMPUTE_PGM_RSRC2:SCRATCH_EN: 1
; COMPUTE_PGM_RSRC2:USER_SGPR: 14
; COMPUTE_PGM_RSRC2:TRAP_HANDLER: 0
; COMPUTE_PGM_RSRC2:TGID_X_EN: 1
; COMPUTE_PGM_RSRC2:TGID_Y_EN: 0
; COMPUTE_PGM_RSRC2:TGID_Z_EN: 1
; COMPUTE_PGM_RSRC2:TIDIG_COMP_CNT: 0
	.text
	.protected	Transform_S_S_011_16_16_VW_1 ; -- Begin function Transform_S_S_011_16_16_VW_1
	.globl	Transform_S_S_011_16_16_VW_1
	.p2align	8
	.type	Transform_S_S_011_16_16_VW_1,@function
Transform_S_S_011_16_16_VW_1:           ; @Transform_S_S_011_16_16_VW_1
; %bb.0:
	s_mov_b64 s[22:23], s[0:1]
	s_load_b32 s0, s[0:1], 0x64
	v_mov_b32_e32 v41, v0
	s_mov_b32 s21, s15
	s_mov_b32 s24, s14
	;; [unrolled: 1-line block ×3, first 2 shown]
	s_waitcnt lgkmcnt(0)
	v_cmp_eq_u16_e64 s0, 0x100, s0
	s_delay_alu instid0(VALU_DEP_1)
	s_and_b32 vcc_lo, exec_lo, s0
	s_mov_b32 s0, -1
	s_cbranch_vccnz .LBB10_2
; %bb.1:
	s_add_u32 s8, s22, 0x58
	s_addc_u32 s9, s23, 0
	s_getpc_b64 s[0:1]
	s_add_u32 s0, s0, __PRETTY_FUNCTION__._ZN10amd_detail9transformIffLb0ELb1ELb1ELj16ELj16ELj1EEEvPT_PKS1_S4_T0_PKS5_S5_S7_jjjjjjbb@rel32@lo+4
	s_addc_u32 s1, s1, __PRETTY_FUNCTION__._ZN10amd_detail9transformIffLb0ELb1ELb1ELj16ELj16ELj1EEEvPT_PKS1_S4_T0_PKS5_S5_S7_jjjjjjbb@rel32@hi+12
	s_delay_alu instid0(SALU_CYCLE_1) | instskip(SKIP_3) | instid1(SALU_CYCLE_1)
	v_dual_mov_b32 v0, s0 :: v_dual_mov_b32 v1, s1
	s_getpc_b64 s[2:3]
	s_add_u32 s2, s2, __assert_fail@rel32@lo+4
	s_addc_u32 s3, s3, __assert_fail@rel32@hi+12
	s_swappc_b64 s[30:31], s[2:3]
	; divergent unreachable
	s_mov_b32 s0, 0
.LBB10_2:
	s_delay_alu instid0(SALU_CYCLE_1)
	s_and_not1_b32 vcc_lo, exec_lo, s0
	s_cbranch_vccnz .LBB10_14
; %bb.3:
	s_load_b256 s[0:7], s[22:23], 0x38
	s_waitcnt lgkmcnt(0)
	s_and_b32 s7, s0, 15
	s_lshr_b32 s8, s0, 4
	s_cmp_lg_u32 s7, 0
	s_cselect_b32 s7, -1, 0
	s_delay_alu instid0(SALU_CYCLE_1) | instskip(SKIP_4) | instid1(VALU_DEP_1)
	s_cmp_lg_u32 s7, 0
	s_addc_u32 s10, s8, 0
	s_load_b64 s[8:9], s[22:23], 0x20
	v_cvt_f32_u32_e32 v0, s10
	s_sub_i32 s11, 0, s10
	v_rcp_iflag_f32_e32 v0, v0
	s_waitcnt_depctr 0xfff
	v_mul_f32_e32 v0, 0x4f7ffffe, v0
	s_delay_alu instid0(VALU_DEP_1) | instskip(NEXT) | instid1(VALU_DEP_1)
	v_cvt_u32_f32_e32 v0, v0
	v_readfirstlane_b32 s7, v0
	s_delay_alu instid0(VALU_DEP_1) | instskip(NEXT) | instid1(SALU_CYCLE_1)
	s_mul_i32 s11, s11, s7
	s_mul_hi_u32 s11, s7, s11
	s_delay_alu instid0(SALU_CYCLE_1)
	s_add_i32 s7, s7, s11
	s_waitcnt lgkmcnt(0)
	s_cmp_eq_u64 s[8:9], 0
	s_mul_hi_u32 s11, s24, s7
	s_cbranch_scc1 .LBB10_6
; %bb.4:
	s_load_b32 s7, s[8:9], 0x0
	s_load_b64 s[8:9], s[22:23], 0x30
	s_waitcnt lgkmcnt(0)
	s_cmp_eq_u64 s[8:9], 0
	s_cbranch_scc1 .LBB10_7
.LBB10_5:
	s_load_b32 s12, s[8:9], 0x0
	s_branch .LBB10_8
.LBB10_6:
	s_clause 0x1
	s_load_b32 s7, s[22:23], 0x18
	s_load_b64 s[8:9], s[22:23], 0x30
	s_waitcnt lgkmcnt(0)
	s_cmp_eq_u64 s[8:9], 0
	s_cbranch_scc0 .LBB10_5
.LBB10_7:
	s_load_b32 s12, s[22:23], 0x28
.LBB10_8:
	s_mul_i32 s8, s11, s10
	s_add_i32 s9, s11, 1
	s_sub_i32 s8, s24, s8
	v_and_b32_e32 v0, 15, v41
	s_sub_i32 s13, s8, s10
	s_cmp_ge_u32 s8, s10
	v_lshrrev_b32_e32 v2, 4, v41
	s_cselect_b32 s9, s9, s11
	s_cselect_b32 s8, s13, s8
	s_add_i32 s11, s9, 1
	s_cmp_ge_u32 s8, s10
	s_cselect_b32 s8, s11, s9
	s_delay_alu instid0(SALU_CYCLE_1) | instskip(NEXT) | instid1(SALU_CYCLE_1)
	s_mul_i32 s9, s8, s10
	s_sub_i32 s9, s24, s9
	s_delay_alu instid0(SALU_CYCLE_1) | instskip(SKIP_1) | instid1(VALU_DEP_2)
	v_lshl_or_b32 v1, s9, 4, v0
	v_lshl_add_u32 v0, s8, 4, v2
	v_cmp_gt_u32_e32 vcc_lo, s0, v1
	s_delay_alu instid0(VALU_DEP_2) | instskip(NEXT) | instid1(VALU_DEP_1)
	v_cmp_gt_u32_e64 s0, s1, v0
	s_and_b32 s0, vcc_lo, s0
	s_delay_alu instid0(SALU_CYCLE_1)
	s_and_saveexec_b32 s1, s0
	s_cbranch_execz .LBB10_14
; %bb.9:
	s_clause 0x1
	s_load_b128 s[8:11], s[22:23], 0x0
	s_load_b64 s[0:1], s[22:23], 0x10
	v_dual_mov_b32 v3, 0 :: v_dual_mov_b32 v2, 0
	s_mul_i32 s21, s21, s5
	s_waitcnt lgkmcnt(0)
	s_cmp_eq_u64 s[10:11], 0
	s_cbranch_scc1 .LBB10_11
; %bb.10:
	s_bitcmp1_b32 s6, 0
	v_mov_b32_e32 v5, 0
	s_cselect_b32 vcc_lo, -1, 0
	v_cndmask_b32_e32 v2, v0, v1, vcc_lo
	v_cndmask_b32_e32 v4, v1, v0, vcc_lo
	s_delay_alu instid0(VALU_DEP_2) | instskip(NEXT) | instid1(VALU_DEP_1)
	v_mul_lo_u32 v2, v2, s2
	v_add3_u32 v4, v4, s21, v2
	s_delay_alu instid0(VALU_DEP_1) | instskip(NEXT) | instid1(VALU_DEP_1)
	v_lshlrev_b64 v[4:5], 2, v[4:5]
	v_add_co_u32 v4, vcc_lo, s10, v4
	s_delay_alu instid0(VALU_DEP_2)
	v_add_co_ci_u32_e32 v5, vcc_lo, s11, v5, vcc_lo
	global_load_b32 v2, v[4:5], off
.LBB10_11:
	s_cmp_eq_u64 s[0:1], 0
	s_cbranch_scc1 .LBB10_13
; %bb.12:
	s_load_b32 s2, s[22:23], 0x50
	v_mov_b32_e32 v4, 0
	s_waitcnt lgkmcnt(0)
	s_bitcmp1_b32 s2, 8
	s_cselect_b32 vcc_lo, -1, 0
	v_cndmask_b32_e32 v3, v1, v0, vcc_lo
	v_cndmask_b32_e32 v5, v0, v1, vcc_lo
	s_delay_alu instid0(VALU_DEP_2) | instskip(NEXT) | instid1(VALU_DEP_1)
	v_mul_lo_u32 v3, v3, s3
	v_add3_u32 v3, v5, s21, v3
	s_delay_alu instid0(VALU_DEP_1) | instskip(NEXT) | instid1(VALU_DEP_1)
	v_lshlrev_b64 v[3:4], 2, v[3:4]
	v_add_co_u32 v3, vcc_lo, s0, v3
	s_delay_alu instid0(VALU_DEP_2)
	v_add_co_ci_u32_e32 v4, vcc_lo, s1, v4, vcc_lo
	global_load_b32 v3, v[3:4], off
.LBB10_13:
	v_mul_lo_u32 v4, v1, s4
	v_mov_b32_e32 v1, 0
	s_waitcnt vmcnt(0)
	v_mul_f32_e32 v3, s12, v3
	s_delay_alu instid0(VALU_DEP_1) | instskip(NEXT) | instid1(VALU_DEP_4)
	v_fmac_f32_e32 v3, s7, v2
	v_add3_u32 v0, v0, s21, v4
	s_delay_alu instid0(VALU_DEP_1) | instskip(NEXT) | instid1(VALU_DEP_1)
	v_lshlrev_b64 v[0:1], 2, v[0:1]
	v_add_co_u32 v0, vcc_lo, s8, v0
	s_delay_alu instid0(VALU_DEP_2)
	v_add_co_ci_u32_e32 v1, vcc_lo, s9, v1, vcc_lo
	global_store_b32 v[0:1], v3, off
.LBB10_14:
	s_endpgm
	.section	.rodata,"a",@progbits
	.p2align	6, 0x0
	.amdhsa_kernel Transform_S_S_011_16_16_VW_1
		.amdhsa_group_segment_fixed_size 0
		.amdhsa_private_segment_fixed_size 64
		.amdhsa_kernarg_size 344
		.amdhsa_user_sgpr_count 14
		.amdhsa_user_sgpr_dispatch_ptr 0
		.amdhsa_user_sgpr_queue_ptr 0
		.amdhsa_user_sgpr_kernarg_segment_ptr 1
		.amdhsa_user_sgpr_dispatch_id 0
		.amdhsa_user_sgpr_private_segment_size 0
		.amdhsa_wavefront_size32 1
		.amdhsa_uses_dynamic_stack 0
		.amdhsa_enable_private_segment 1
		.amdhsa_system_sgpr_workgroup_id_x 1
		.amdhsa_system_sgpr_workgroup_id_y 0
		.amdhsa_system_sgpr_workgroup_id_z 1
		.amdhsa_system_sgpr_workgroup_info 0
		.amdhsa_system_vgpr_workitem_id 0
		.amdhsa_next_free_vgpr 42
		.amdhsa_next_free_sgpr 34
		.amdhsa_reserve_vcc 1
		.amdhsa_float_round_mode_32 0
		.amdhsa_float_round_mode_16_64 0
		.amdhsa_float_denorm_mode_32 3
		.amdhsa_float_denorm_mode_16_64 3
		.amdhsa_dx10_clamp 1
		.amdhsa_ieee_mode 1
		.amdhsa_fp16_overflow 0
		.amdhsa_workgroup_processor_mode 1
		.amdhsa_memory_ordered 1
		.amdhsa_forward_progress 0
		.amdhsa_shared_vgpr_count 0
		.amdhsa_exception_fp_ieee_invalid_op 0
		.amdhsa_exception_fp_denorm_src 0
		.amdhsa_exception_fp_ieee_div_zero 0
		.amdhsa_exception_fp_ieee_overflow 0
		.amdhsa_exception_fp_ieee_underflow 0
		.amdhsa_exception_fp_ieee_inexact 0
		.amdhsa_exception_int_div_zero 0
	.end_amdhsa_kernel
	.text
.Lfunc_end10:
	.size	Transform_S_S_011_16_16_VW_1, .Lfunc_end10-Transform_S_S_011_16_16_VW_1
                                        ; -- End function
	.section	.AMDGPU.csdata,"",@progbits
; Kernel info:
; codeLenInByte = 748
; NumSgprs: 36
; NumVgprs: 42
; ScratchSize: 64
; MemoryBound: 0
; FloatMode: 240
; IeeeMode: 1
; LDSByteSize: 0 bytes/workgroup (compile time only)
; SGPRBlocks: 4
; VGPRBlocks: 5
; NumSGPRsForWavesPerEU: 36
; NumVGPRsForWavesPerEU: 42
; Occupancy: 16
; WaveLimiterHint : 1
; COMPUTE_PGM_RSRC2:SCRATCH_EN: 1
; COMPUTE_PGM_RSRC2:USER_SGPR: 14
; COMPUTE_PGM_RSRC2:TRAP_HANDLER: 0
; COMPUTE_PGM_RSRC2:TGID_X_EN: 1
; COMPUTE_PGM_RSRC2:TGID_Y_EN: 0
; COMPUTE_PGM_RSRC2:TGID_Z_EN: 1
; COMPUTE_PGM_RSRC2:TIDIG_COMP_CNT: 0
	.text
	.protected	Transform_S_S_011_16_16_VW_4 ; -- Begin function Transform_S_S_011_16_16_VW_4
	.globl	Transform_S_S_011_16_16_VW_4
	.p2align	8
	.type	Transform_S_S_011_16_16_VW_4,@function
Transform_S_S_011_16_16_VW_4:           ; @Transform_S_S_011_16_16_VW_4
; %bb.0:
	s_mov_b64 s[22:23], s[0:1]
	s_load_b32 s0, s[0:1], 0x64
	v_mov_b32_e32 v41, v0
	s_mov_b32 s24, s15
	s_mov_b32 s21, s14
	;; [unrolled: 1-line block ×3, first 2 shown]
	s_waitcnt lgkmcnt(0)
	v_cmp_eq_u16_e64 s0, 0x100, s0
	s_delay_alu instid0(VALU_DEP_1)
	s_and_b32 vcc_lo, exec_lo, s0
	s_mov_b32 s0, -1
	s_cbranch_vccnz .LBB11_2
; %bb.1:
	s_add_u32 s8, s22, 0x58
	s_addc_u32 s9, s23, 0
	s_getpc_b64 s[0:1]
	s_add_u32 s0, s0, __PRETTY_FUNCTION__._ZN10amd_detail9transformIffLb0ELb1ELb1ELj16ELj16ELj4EEEvPT_PKS1_S4_T0_PKS5_S5_S7_jjjjjjbb@rel32@lo+4
	s_addc_u32 s1, s1, __PRETTY_FUNCTION__._ZN10amd_detail9transformIffLb0ELb1ELb1ELj16ELj16ELj4EEEvPT_PKS1_S4_T0_PKS5_S5_S7_jjjjjjbb@rel32@hi+12
	s_delay_alu instid0(SALU_CYCLE_1) | instskip(SKIP_3) | instid1(SALU_CYCLE_1)
	v_dual_mov_b32 v0, s0 :: v_dual_mov_b32 v1, s1
	s_getpc_b64 s[2:3]
	s_add_u32 s2, s2, __assert_fail@rel32@lo+4
	s_addc_u32 s3, s3, __assert_fail@rel32@hi+12
	s_swappc_b64 s[30:31], s[2:3]
	; divergent unreachable
	s_mov_b32 s0, 0
.LBB11_2:
	s_delay_alu instid0(SALU_CYCLE_1)
	s_and_not1_b32 vcc_lo, exec_lo, s0
	s_cbranch_vccnz .LBB11_55
; %bb.3:
	s_load_b128 s[0:3], s[22:23], 0x38
	s_waitcnt lgkmcnt(0)
	s_and_b32 s4, s0, 15
	s_lshr_b32 s5, s0, 4
	s_cmp_lg_u32 s4, 0
	s_cselect_b32 s4, -1, 0
	s_delay_alu instid0(SALU_CYCLE_1) | instskip(SKIP_4) | instid1(VALU_DEP_1)
	s_cmp_lg_u32 s4, 0
	s_addc_u32 s6, s5, 0
	s_load_b64 s[4:5], s[22:23], 0x20
	v_cvt_f32_u32_e32 v0, s6
	s_sub_i32 s8, 0, s6
	v_rcp_iflag_f32_e32 v0, v0
	s_waitcnt_depctr 0xfff
	v_mul_f32_e32 v0, 0x4f7ffffe, v0
	s_delay_alu instid0(VALU_DEP_1) | instskip(NEXT) | instid1(VALU_DEP_1)
	v_cvt_u32_f32_e32 v0, v0
	v_readfirstlane_b32 s7, v0
	s_delay_alu instid0(VALU_DEP_1) | instskip(NEXT) | instid1(SALU_CYCLE_1)
	s_mul_i32 s8, s8, s7
	s_mul_hi_u32 s8, s7, s8
	s_delay_alu instid0(SALU_CYCLE_1)
	s_add_i32 s7, s7, s8
	s_waitcnt lgkmcnt(0)
	s_cmp_eq_u64 s[4:5], 0
	s_mul_hi_u32 s7, s21, s7
	s_cbranch_scc1 .LBB11_6
; %bb.4:
	s_load_b32 s15, s[4:5], 0x0
	s_load_b64 s[4:5], s[22:23], 0x30
	s_waitcnt lgkmcnt(0)
	s_cmp_eq_u64 s[4:5], 0
	s_cbranch_scc1 .LBB11_7
.LBB11_5:
	s_load_b32 s16, s[4:5], 0x0
	s_branch .LBB11_8
.LBB11_6:
	s_clause 0x1
	s_load_b32 s15, s[22:23], 0x18
	s_load_b64 s[4:5], s[22:23], 0x30
	s_waitcnt lgkmcnt(0)
	s_cmp_eq_u64 s[4:5], 0
	s_cbranch_scc0 .LBB11_5
.LBB11_7:
	s_load_b32 s16, s[22:23], 0x28
.LBB11_8:
	s_mul_i32 s4, s7, s6
	s_add_i32 s5, s7, 1
	s_sub_i32 s4, s21, s4
	v_and_b32_e32 v10, 15, v41
	s_sub_i32 s8, s4, s6
	s_cmp_ge_u32 s4, s6
	s_cselect_b32 s5, s5, s7
	s_cselect_b32 s4, s8, s4
	s_add_i32 s7, s5, 1
	s_cmp_ge_u32 s4, s6
	s_cselect_b32 s12, s7, s5
	s_delay_alu instid0(SALU_CYCLE_1) | instskip(NEXT) | instid1(SALU_CYCLE_1)
	s_mul_i32 s14, s12, s6
	s_sub_i32 s4, s21, s14
	s_delay_alu instid0(SALU_CYCLE_1) | instskip(NEXT) | instid1(VALU_DEP_1)
	v_lshl_or_b32 v0, s4, 4, v10
	v_cmp_gt_u32_e32 vcc_lo, s0, v0
	s_and_saveexec_b32 s0, vcc_lo
	s_cbranch_execz .LBB11_55
; %bb.9:
	v_lshrrev_b32_e32 v1, 2, v41
	s_clause 0x1
	s_load_b128 s[8:11], s[22:23], 0x48
	s_load_b128 s[4:7], s[22:23], 0x0
	s_waitcnt lgkmcnt(0)
	s_lshl_b32 s11, s12, 6
	s_load_b64 s[12:13], s[22:23], 0x10
	v_dual_mov_b32 v4, 0 :: v_dual_and_b32 v11, 0xfc, v1
	v_mov_b32_e32 v3, 0
	s_delay_alu instid0(VALU_DEP_2) | instskip(NEXT) | instid1(VALU_DEP_1)
	v_add_nc_u32_e32 v9, s11, v11
	v_add_nc_u32_e32 v12, 4, v9
	v_mad_u64_u32 v[1:2], null, v0, s2, v[9:10]
	s_bitcmp1_b32 s10, 0
	s_delay_alu instid0(VALU_DEP_2)
	v_sub_nc_u32_e64 v13, v12, s1 clamp
	s_cselect_b32 vcc_lo, -1, 0
	s_cmp_lg_u64 s[6:7], 0
	s_mul_i32 s24, s24, s9
	s_cselect_b32 s10, -1, 0
	v_sub_nc_u32_e32 v7, v9, v13
	v_sub_nc_u32_e32 v5, v1, v13
	s_cmp_eq_u64 s[6:7], 0
	s_cbranch_scc1 .LBB11_11
; %bb.10:
	s_delay_alu instid0(VALU_DEP_2) | instskip(NEXT) | instid1(VALU_DEP_1)
	v_mad_u64_u32 v[1:2], null, v7, s2, v[0:1]
	v_dual_mov_b32 v2, 0 :: v_dual_cndmask_b32 v1, v1, v5
	s_delay_alu instid0(VALU_DEP_1) | instskip(NEXT) | instid1(VALU_DEP_1)
	v_add_nc_u32_e32 v1, s24, v1
	v_lshlrev_b64 v[1:2], 2, v[1:2]
	s_delay_alu instid0(VALU_DEP_1) | instskip(NEXT) | instid1(VALU_DEP_1)
	v_add_co_u32 v1, s0, s6, v1
	v_add_co_ci_u32_e64 v2, s0, s7, v2, s0
	global_load_b32 v3, v[1:2], off
.LBB11_11:
	s_load_b32 s0, s[22:23], 0x50
	v_mad_u64_u32 v[1:2], null, v0, s3, v[9:10]
	v_mul_lo_u32 v6, v7, s3
	s_xor_b32 s17, vcc_lo, -1
	s_delay_alu instid0(VALU_DEP_2)
	v_sub_nc_u32_e32 v8, v1, v13
	s_waitcnt lgkmcnt(0)
	s_bitcmp1_b32 s0, 8
	s_cselect_b32 s0, -1, 0
	s_cmp_lg_u64 s[12:13], 0
	s_cselect_b32 s9, -1, 0
	s_cmp_eq_u64 s[12:13], 0
	s_cbranch_scc1 .LBB11_13
; %bb.12:
	v_dual_mov_b32 v2, 0 :: v_dual_add_nc_u32 v1, v6, v0
	s_delay_alu instid0(VALU_DEP_1) | instskip(NEXT) | instid1(VALU_DEP_1)
	v_cndmask_b32_e64 v1, v8, v1, s0
	v_add_nc_u32_e32 v1, s24, v1
	s_delay_alu instid0(VALU_DEP_1) | instskip(NEXT) | instid1(VALU_DEP_1)
	v_lshlrev_b64 v[1:2], 2, v[1:2]
	v_add_co_u32 v1, vcc_lo, s12, v1
	s_delay_alu instid0(VALU_DEP_2)
	v_add_co_ci_u32_e32 v2, vcc_lo, s13, v2, vcc_lo
	global_load_b32 v4, v[1:2], off
.LBB11_13:
	v_cndmask_b32_e64 v16, 0, 1, s17
	s_and_not1_b32 vcc_lo, exec_lo, s17
	s_cbranch_vccnz .LBB11_15
; %bb.14:
	v_mul_lo_u32 v1, s2, v7
	s_delay_alu instid0(VALU_DEP_1)
	v_add3_u32 v1, v1, s2, v0
	s_xor_b32 s0, s0, -1
	s_cbranch_execz .LBB11_16
	s_branch .LBB11_17
.LBB11_15:
                                        ; implicit-def: $vgpr1
	s_xor_b32 s0, s0, -1
.LBB11_16:
	v_add_nc_u32_e32 v1, 1, v5
.LBB11_17:
	v_cndmask_b32_e64 v17, 0, 1, s0
	s_and_not1_b32 vcc_lo, exec_lo, s0
	s_cbranch_vccnz .LBB11_19
; %bb.18:
	v_add_nc_u32_e32 v2, 1, v8
	s_cbranch_execz .LBB11_20
	s_branch .LBB11_21
.LBB11_19:
                                        ; implicit-def: $vgpr2
.LBB11_20:
	v_add3_u32 v2, v6, s3, v0
.LBB11_21:
	v_cndmask_b32_e64 v18, 0, 1, s10
	v_dual_mov_b32 v15, 0 :: v_dual_mov_b32 v14, 0
	s_and_not1_b32 vcc_lo, exec_lo, s10
	s_cbranch_vccnz .LBB11_23
; %bb.22:
	v_dual_mov_b32 v20, 0 :: v_dual_add_nc_u32 v19, s24, v1
	s_delay_alu instid0(VALU_DEP_1) | instskip(NEXT) | instid1(VALU_DEP_1)
	v_lshlrev_b64 v[19:20], 2, v[19:20]
	v_add_co_u32 v19, vcc_lo, s6, v19
	s_delay_alu instid0(VALU_DEP_2)
	v_add_co_ci_u32_e32 v20, vcc_lo, s7, v20, vcc_lo
	global_load_b32 v14, v[19:20], off
.LBB11_23:
	v_cndmask_b32_e64 v19, 0, 1, s9
	s_and_not1_b32 vcc_lo, exec_lo, s9
	s_cbranch_vccnz .LBB11_25
; %bb.24:
	v_dual_mov_b32 v2, 0 :: v_dual_add_nc_u32 v1, s24, v2
	s_delay_alu instid0(VALU_DEP_1) | instskip(NEXT) | instid1(VALU_DEP_1)
	v_lshlrev_b64 v[1:2], 2, v[1:2]
	v_add_co_u32 v1, vcc_lo, s12, v1
	s_delay_alu instid0(VALU_DEP_2)
	v_add_co_ci_u32_e32 v2, vcc_lo, s13, v2, vcc_lo
	global_load_b32 v15, v[1:2], off
.LBB11_25:
	v_cmp_ne_u32_e32 vcc_lo, 1, v16
	s_cbranch_vccnz .LBB11_27
; %bb.26:
	v_add_nc_u32_e32 v20, 2, v7
	s_delay_alu instid0(VALU_DEP_1)
	v_mad_u64_u32 v[1:2], null, v20, s2, v[0:1]
	s_cbranch_execz .LBB11_28
	s_branch .LBB11_29
.LBB11_27:
                                        ; implicit-def: $vgpr1
.LBB11_28:
	v_add_nc_u32_e32 v1, 2, v5
.LBB11_29:
	v_cmp_ne_u32_e32 vcc_lo, 1, v17
	s_cbranch_vccnz .LBB11_31
; %bb.30:
	v_add_nc_u32_e32 v2, 2, v8
	s_cbranch_execz .LBB11_32
	s_branch .LBB11_33
.LBB11_31:
                                        ; implicit-def: $vgpr2
.LBB11_32:
	s_lshl_b32 s0, s3, 1
	s_delay_alu instid0(SALU_CYCLE_1)
	v_add3_u32 v2, v6, s0, v0
.LBB11_33:
	v_cmp_ne_u32_e32 vcc_lo, 1, v18
	v_dual_mov_b32 v21, 0 :: v_dual_mov_b32 v20, 0
	s_cbranch_vccnz .LBB11_35
; %bb.34:
	v_dual_mov_b32 v23, 0 :: v_dual_add_nc_u32 v22, s24, v1
	s_delay_alu instid0(VALU_DEP_1) | instskip(NEXT) | instid1(VALU_DEP_1)
	v_lshlrev_b64 v[22:23], 2, v[22:23]
	v_add_co_u32 v22, vcc_lo, s6, v22
	s_delay_alu instid0(VALU_DEP_2)
	v_add_co_ci_u32_e32 v23, vcc_lo, s7, v23, vcc_lo
	global_load_b32 v20, v[22:23], off
.LBB11_35:
	v_cmp_ne_u32_e32 vcc_lo, 1, v19
	s_cbranch_vccnz .LBB11_37
; %bb.36:
	v_dual_mov_b32 v2, 0 :: v_dual_add_nc_u32 v1, s24, v2
	s_delay_alu instid0(VALU_DEP_1) | instskip(NEXT) | instid1(VALU_DEP_1)
	v_lshlrev_b64 v[1:2], 2, v[1:2]
	v_add_co_u32 v1, vcc_lo, s12, v1
	s_delay_alu instid0(VALU_DEP_2)
	v_add_co_ci_u32_e32 v2, vcc_lo, s13, v2, vcc_lo
	global_load_b32 v21, v[1:2], off
.LBB11_37:
	v_cmp_ne_u32_e32 vcc_lo, 1, v16
	s_cbranch_vccnz .LBB11_39
; %bb.38:
	v_add_nc_u32_e32 v7, 3, v7
	s_delay_alu instid0(VALU_DEP_1)
	v_mad_u64_u32 v[1:2], null, v7, s2, v[0:1]
	s_cbranch_execz .LBB11_40
	s_branch .LBB11_41
.LBB11_39:
                                        ; implicit-def: $vgpr1
.LBB11_40:
	v_add_nc_u32_e32 v1, 3, v5
.LBB11_41:
	v_cmp_ne_u32_e32 vcc_lo, 1, v17
	s_cbranch_vccnz .LBB11_43
; %bb.42:
	v_add_nc_u32_e32 v2, 3, v8
	s_cbranch_execz .LBB11_44
	s_branch .LBB11_45
.LBB11_43:
                                        ; implicit-def: $vgpr2
.LBB11_44:
	s_mul_i32 s0, s3, 3
	s_delay_alu instid0(SALU_CYCLE_1)
	v_add3_u32 v2, v6, s0, v0
.LBB11_45:
	v_cmp_ne_u32_e32 vcc_lo, 1, v18
	v_dual_mov_b32 v6, 0 :: v_dual_mov_b32 v5, 0
	s_cbranch_vccnz .LBB11_47
; %bb.46:
	v_dual_mov_b32 v8, 0 :: v_dual_add_nc_u32 v7, s24, v1
	s_delay_alu instid0(VALU_DEP_1) | instskip(NEXT) | instid1(VALU_DEP_1)
	v_lshlrev_b64 v[7:8], 2, v[7:8]
	v_add_co_u32 v7, vcc_lo, s6, v7
	s_delay_alu instid0(VALU_DEP_2)
	v_add_co_ci_u32_e32 v8, vcc_lo, s7, v8, vcc_lo
	global_load_b32 v5, v[7:8], off
.LBB11_47:
	v_cmp_ne_u32_e32 vcc_lo, 1, v19
	s_cbranch_vccnz .LBB11_49
; %bb.48:
	v_dual_mov_b32 v2, 0 :: v_dual_add_nc_u32 v1, s24, v2
	s_delay_alu instid0(VALU_DEP_1) | instskip(NEXT) | instid1(VALU_DEP_1)
	v_lshlrev_b64 v[1:2], 2, v[1:2]
	v_add_co_u32 v1, vcc_lo, s12, v1
	s_delay_alu instid0(VALU_DEP_2)
	v_add_co_ci_u32_e32 v2, vcc_lo, s13, v2, vcc_lo
	global_load_b32 v6, v[1:2], off
.LBB11_49:
	s_waitcnt vmcnt(0)
	v_dual_mul_f32 v16, s16, v4 :: v_dual_mul_f32 v1, s16, v15
	v_mul_f32_e32 v4, s16, v21
	v_mul_f32_e32 v8, s16, v6
	s_mov_b32 s0, exec_lo
	s_delay_alu instid0(VALU_DEP_3) | instskip(NEXT) | instid1(VALU_DEP_3)
	v_dual_fmac_f32 v16, s15, v3 :: v_dual_fmac_f32 v1, s15, v14
	v_fmac_f32_e32 v4, s15, v20
	s_delay_alu instid0(VALU_DEP_3)
	v_fmac_f32_e32 v8, s15, v5
	v_cmpx_ge_u32_e64 s1, v12
	s_xor_b32 s0, exec_lo, s0
	s_cbranch_execz .LBB11_51
; %bb.50:
	v_mul_lo_u32 v0, v0, s8
	s_delay_alu instid0(VALU_DEP_1) | instskip(NEXT) | instid1(VALU_DEP_1)
	v_add3_u32 v0, v9, s24, v0
	v_sub_nc_u32_e32 v2, v0, v13
	v_mov_b32_e32 v3, 0
                                        ; implicit-def: $vgpr13
	s_delay_alu instid0(VALU_DEP_2) | instskip(NEXT) | instid1(VALU_DEP_2)
	v_add_nc_u32_e32 v5, 1, v2
	v_lshlrev_b64 v[11:12], 2, v[2:3]
	v_add_nc_u32_e32 v9, 2, v2
	v_add_nc_u32_e32 v2, 3, v2
	v_mov_b32_e32 v6, v3
	v_mov_b32_e32 v10, v3
	v_add_co_u32 v11, vcc_lo, s4, v11
	s_delay_alu instid0(VALU_DEP_3) | instskip(NEXT) | instid1(VALU_DEP_3)
	v_lshlrev_b64 v[5:6], 2, v[5:6]
	v_lshlrev_b64 v[9:10], 2, v[9:10]
	v_add_co_ci_u32_e32 v12, vcc_lo, s5, v12, vcc_lo
	v_lshlrev_b64 v[2:3], 2, v[2:3]
	s_delay_alu instid0(VALU_DEP_4)
	v_add_co_u32 v5, vcc_lo, s4, v5
	v_add_co_ci_u32_e32 v6, vcc_lo, s5, v6, vcc_lo
	v_add_co_u32 v9, vcc_lo, s4, v9
	v_add_co_ci_u32_e32 v10, vcc_lo, s5, v10, vcc_lo
	;; [unrolled: 2-line block ×3, first 2 shown]
	s_clause 0x3
	global_store_b32 v[11:12], v16, off
	global_store_b32 v[5:6], v1, off
	;; [unrolled: 1-line block ×4, first 2 shown]
                                        ; implicit-def: $vgpr0_vgpr1_vgpr2_vgpr3
                                        ; implicit-def: $vgpr2_vgpr3_vgpr4_vgpr5
                                        ; implicit-def: $vgpr10
                                        ; implicit-def: $vgpr11
                                        ; implicit-def: $vgpr9
                                        ; implicit-def: $vgpr12
                                        ; implicit-def: $vgpr16
                                        ; implicit-def: $vgpr5_vgpr6_vgpr7_vgpr8
.LBB11_51:
	s_and_not1_saveexec_b32 s0, s0
	s_cbranch_execz .LBB11_55
; %bb.52:
	v_cmp_gt_u32_e32 vcc_lo, 4, v13
	s_and_b32 exec_lo, exec_lo, vcc_lo
	s_cbranch_execz .LBB11_55
; %bb.53:
	v_lshl_or_b32 v0, s21, 4, v10
	s_lshl_b32 s0, s14, 4
	v_min_u32_e32 v2, s1, v12
	s_add_i32 s11, s11, s24
	s_mov_b32 s1, 0
	v_subrev_nc_u32_e32 v0, s0, v0
	s_delay_alu instid0(VALU_DEP_1) | instskip(SKIP_1) | instid1(VALU_DEP_1)
	v_mul_lo_u32 v3, s8, v0
	v_sub_nc_u32_e32 v0, v9, v2
	v_add_nc_u32_e32 v0, 3, v0
	s_delay_alu instid0(VALU_DEP_3)
	v_add3_u32 v2, s11, v3, v11
	v_mov_b32_e32 v3, 0
	.p2align	6
.LBB11_54:                              ; =>This Inner Loop Header: Depth=1
	s_delay_alu instid0(VALU_DEP_3) | instskip(NEXT) | instid1(VALU_DEP_2)
	v_add_nc_u32_e32 v0, 1, v0
	v_lshlrev_b64 v[5:6], 2, v[2:3]
	v_add_nc_u32_e32 v2, 1, v2
	s_delay_alu instid0(VALU_DEP_3) | instskip(SKIP_3) | instid1(VALU_DEP_2)
	v_cmp_eq_u32_e32 vcc_lo, 1, v0
	v_cndmask_b32_e32 v7, v16, v1, vcc_lo
	v_cmp_eq_u32_e64 s0, 2, v0
	v_cmp_lt_u32_e32 vcc_lo, 2, v0
	v_cndmask_b32_e64 v7, v7, v4, s0
	v_add_co_u32 v5, s0, s4, v5
	s_delay_alu instid0(VALU_DEP_1) | instskip(SKIP_2) | instid1(VALU_DEP_1)
	v_add_co_ci_u32_e64 v6, s0, s5, v6, s0
	v_cmp_eq_u32_e64 s0, 3, v0
	s_or_b32 s1, vcc_lo, s1
	v_cndmask_b32_e64 v7, v7, v8, s0
	global_store_b32 v[5:6], v7, off
	s_and_not1_b32 exec_lo, exec_lo, s1
	s_cbranch_execnz .LBB11_54
.LBB11_55:
	s_endpgm
	.section	.rodata,"a",@progbits
	.p2align	6, 0x0
	.amdhsa_kernel Transform_S_S_011_16_16_VW_4
		.amdhsa_group_segment_fixed_size 0
		.amdhsa_private_segment_fixed_size 64
		.amdhsa_kernarg_size 344
		.amdhsa_user_sgpr_count 14
		.amdhsa_user_sgpr_dispatch_ptr 0
		.amdhsa_user_sgpr_queue_ptr 0
		.amdhsa_user_sgpr_kernarg_segment_ptr 1
		.amdhsa_user_sgpr_dispatch_id 0
		.amdhsa_user_sgpr_private_segment_size 0
		.amdhsa_wavefront_size32 1
		.amdhsa_uses_dynamic_stack 0
		.amdhsa_enable_private_segment 1
		.amdhsa_system_sgpr_workgroup_id_x 1
		.amdhsa_system_sgpr_workgroup_id_y 0
		.amdhsa_system_sgpr_workgroup_id_z 1
		.amdhsa_system_sgpr_workgroup_info 0
		.amdhsa_system_vgpr_workitem_id 0
		.amdhsa_next_free_vgpr 42
		.amdhsa_next_free_sgpr 34
		.amdhsa_reserve_vcc 1
		.amdhsa_float_round_mode_32 0
		.amdhsa_float_round_mode_16_64 0
		.amdhsa_float_denorm_mode_32 3
		.amdhsa_float_denorm_mode_16_64 3
		.amdhsa_dx10_clamp 1
		.amdhsa_ieee_mode 1
		.amdhsa_fp16_overflow 0
		.amdhsa_workgroup_processor_mode 1
		.amdhsa_memory_ordered 1
		.amdhsa_forward_progress 0
		.amdhsa_shared_vgpr_count 0
		.amdhsa_exception_fp_ieee_invalid_op 0
		.amdhsa_exception_fp_denorm_src 0
		.amdhsa_exception_fp_ieee_div_zero 0
		.amdhsa_exception_fp_ieee_overflow 0
		.amdhsa_exception_fp_ieee_underflow 0
		.amdhsa_exception_fp_ieee_inexact 0
		.amdhsa_exception_int_div_zero 0
	.end_amdhsa_kernel
	.text
.Lfunc_end11:
	.size	Transform_S_S_011_16_16_VW_4, .Lfunc_end11-Transform_S_S_011_16_16_VW_4
                                        ; -- End function
	.section	.AMDGPU.csdata,"",@progbits
; Kernel info:
; codeLenInByte = 1760
; NumSgprs: 36
; NumVgprs: 42
; ScratchSize: 64
; MemoryBound: 0
; FloatMode: 240
; IeeeMode: 1
; LDSByteSize: 0 bytes/workgroup (compile time only)
; SGPRBlocks: 4
; VGPRBlocks: 5
; NumSGPRsForWavesPerEU: 36
; NumVGPRsForWavesPerEU: 42
; Occupancy: 16
; WaveLimiterHint : 1
; COMPUTE_PGM_RSRC2:SCRATCH_EN: 1
; COMPUTE_PGM_RSRC2:USER_SGPR: 14
; COMPUTE_PGM_RSRC2:TRAP_HANDLER: 0
; COMPUTE_PGM_RSRC2:TGID_X_EN: 1
; COMPUTE_PGM_RSRC2:TGID_Y_EN: 0
; COMPUTE_PGM_RSRC2:TGID_Z_EN: 1
; COMPUTE_PGM_RSRC2:TIDIG_COMP_CNT: 0
	.text
	.protected	Transform_S_S_010_16_16_VW_1 ; -- Begin function Transform_S_S_010_16_16_VW_1
	.globl	Transform_S_S_010_16_16_VW_1
	.p2align	8
	.type	Transform_S_S_010_16_16_VW_1,@function
Transform_S_S_010_16_16_VW_1:           ; @Transform_S_S_010_16_16_VW_1
; %bb.0:
	s_mov_b64 s[22:23], s[0:1]
	s_load_b32 s0, s[0:1], 0x64
	v_mov_b32_e32 v41, v0
	s_mov_b32 s21, s15
	s_mov_b32 s24, s14
	;; [unrolled: 1-line block ×3, first 2 shown]
	s_waitcnt lgkmcnt(0)
	v_cmp_eq_u16_e64 s0, 0x100, s0
	s_delay_alu instid0(VALU_DEP_1)
	s_and_b32 vcc_lo, exec_lo, s0
	s_mov_b32 s0, -1
	s_cbranch_vccnz .LBB12_2
; %bb.1:
	s_add_u32 s8, s22, 0x58
	s_addc_u32 s9, s23, 0
	s_getpc_b64 s[0:1]
	s_add_u32 s0, s0, __PRETTY_FUNCTION__._ZN10amd_detail9transformIffLb0ELb1ELb0ELj16ELj16ELj1EEEvPT_PKS1_S4_T0_PKS5_S5_S7_jjjjjjbb@rel32@lo+4
	s_addc_u32 s1, s1, __PRETTY_FUNCTION__._ZN10amd_detail9transformIffLb0ELb1ELb0ELj16ELj16ELj1EEEvPT_PKS1_S4_T0_PKS5_S5_S7_jjjjjjbb@rel32@hi+12
	s_delay_alu instid0(SALU_CYCLE_1) | instskip(SKIP_3) | instid1(SALU_CYCLE_1)
	v_dual_mov_b32 v0, s0 :: v_dual_mov_b32 v1, s1
	s_getpc_b64 s[2:3]
	s_add_u32 s2, s2, __assert_fail@rel32@lo+4
	s_addc_u32 s3, s3, __assert_fail@rel32@hi+12
	s_swappc_b64 s[30:31], s[2:3]
	; divergent unreachable
	s_mov_b32 s0, 0
.LBB12_2:
	s_delay_alu instid0(SALU_CYCLE_1)
	s_and_not1_b32 vcc_lo, exec_lo, s0
	s_cbranch_vccnz .LBB12_14
; %bb.3:
	s_load_b256 s[0:7], s[22:23], 0x38
	s_waitcnt lgkmcnt(0)
	s_and_b32 s7, s0, 15
	s_lshr_b32 s8, s0, 4
	s_cmp_lg_u32 s7, 0
	s_cselect_b32 s7, -1, 0
	s_delay_alu instid0(SALU_CYCLE_1) | instskip(SKIP_4) | instid1(VALU_DEP_1)
	s_cmp_lg_u32 s7, 0
	s_addc_u32 s10, s8, 0
	s_load_b64 s[8:9], s[22:23], 0x20
	v_cvt_f32_u32_e32 v0, s10
	s_sub_i32 s11, 0, s10
	v_rcp_iflag_f32_e32 v0, v0
	s_waitcnt_depctr 0xfff
	v_mul_f32_e32 v0, 0x4f7ffffe, v0
	s_delay_alu instid0(VALU_DEP_1) | instskip(NEXT) | instid1(VALU_DEP_1)
	v_cvt_u32_f32_e32 v0, v0
	v_readfirstlane_b32 s7, v0
	s_delay_alu instid0(VALU_DEP_1) | instskip(NEXT) | instid1(SALU_CYCLE_1)
	s_mul_i32 s11, s11, s7
	s_mul_hi_u32 s11, s7, s11
	s_delay_alu instid0(SALU_CYCLE_1)
	s_add_i32 s7, s7, s11
	s_waitcnt lgkmcnt(0)
	s_cmp_eq_u64 s[8:9], 0
	s_mul_hi_u32 s11, s24, s7
	s_cbranch_scc1 .LBB12_6
; %bb.4:
	s_load_b32 s7, s[8:9], 0x0
	s_load_b64 s[8:9], s[22:23], 0x30
	s_waitcnt lgkmcnt(0)
	s_cmp_eq_u64 s[8:9], 0
	s_cbranch_scc1 .LBB12_7
.LBB12_5:
	s_load_b32 s12, s[8:9], 0x0
	s_branch .LBB12_8
.LBB12_6:
	s_clause 0x1
	s_load_b32 s7, s[22:23], 0x18
	s_load_b64 s[8:9], s[22:23], 0x30
	s_waitcnt lgkmcnt(0)
	s_cmp_eq_u64 s[8:9], 0
	s_cbranch_scc0 .LBB12_5
.LBB12_7:
	s_load_b32 s12, s[22:23], 0x28
.LBB12_8:
	s_mul_i32 s8, s11, s10
	s_add_i32 s9, s11, 1
	s_sub_i32 s8, s24, s8
	v_and_b32_e32 v0, 15, v41
	s_sub_i32 s13, s8, s10
	s_cmp_ge_u32 s8, s10
	v_lshrrev_b32_e32 v1, 4, v41
	s_cselect_b32 s9, s9, s11
	s_cselect_b32 s8, s13, s8
	s_add_i32 s11, s9, 1
	s_cmp_ge_u32 s8, s10
	s_cselect_b32 s8, s11, s9
	s_delay_alu instid0(SALU_CYCLE_1) | instskip(SKIP_2) | instid1(SALU_CYCLE_1)
	s_mul_i32 s9, s8, s10
	v_lshl_add_u32 v1, s8, 4, v1
	s_sub_i32 s9, s24, s9
	v_lshl_or_b32 v0, s9, 4, v0
	s_delay_alu instid0(VALU_DEP_1) | instskip(NEXT) | instid1(VALU_DEP_3)
	v_cmp_gt_u32_e32 vcc_lo, s0, v0
	v_cmp_gt_u32_e64 s0, s1, v1
	s_delay_alu instid0(VALU_DEP_1) | instskip(NEXT) | instid1(SALU_CYCLE_1)
	s_and_b32 s0, vcc_lo, s0
	s_and_saveexec_b32 s1, s0
	s_cbranch_execz .LBB12_14
; %bb.9:
	s_clause 0x1
	s_load_b128 s[8:11], s[22:23], 0x0
	s_load_b64 s[0:1], s[22:23], 0x10
	v_dual_mov_b32 v3, 0 :: v_dual_mov_b32 v2, 0
	s_mul_i32 s21, s21, s5
	s_waitcnt lgkmcnt(0)
	s_cmp_eq_u64 s[10:11], 0
	s_cbranch_scc1 .LBB12_11
; %bb.10:
	s_bitcmp1_b32 s6, 0
	v_mov_b32_e32 v5, 0
	s_cselect_b32 vcc_lo, -1, 0
	v_cndmask_b32_e32 v2, v1, v0, vcc_lo
	v_cndmask_b32_e32 v4, v0, v1, vcc_lo
	s_delay_alu instid0(VALU_DEP_2) | instskip(NEXT) | instid1(VALU_DEP_1)
	v_mul_lo_u32 v2, v2, s2
	v_add3_u32 v4, v4, s21, v2
	s_delay_alu instid0(VALU_DEP_1) | instskip(NEXT) | instid1(VALU_DEP_1)
	v_lshlrev_b64 v[4:5], 2, v[4:5]
	v_add_co_u32 v4, vcc_lo, s10, v4
	s_delay_alu instid0(VALU_DEP_2)
	v_add_co_ci_u32_e32 v5, vcc_lo, s11, v5, vcc_lo
	global_load_b32 v2, v[4:5], off
.LBB12_11:
	s_cmp_eq_u64 s[0:1], 0
	s_cbranch_scc1 .LBB12_13
; %bb.12:
	s_load_b32 s2, s[22:23], 0x50
	v_mov_b32_e32 v4, 0
	s_waitcnt lgkmcnt(0)
	s_bitcmp1_b32 s2, 8
	s_cselect_b32 vcc_lo, -1, 0
	v_cndmask_b32_e32 v3, v0, v1, vcc_lo
	v_cndmask_b32_e32 v5, v1, v0, vcc_lo
	s_delay_alu instid0(VALU_DEP_2) | instskip(NEXT) | instid1(VALU_DEP_1)
	v_mul_lo_u32 v3, v3, s3
	v_add3_u32 v3, v5, s21, v3
	s_delay_alu instid0(VALU_DEP_1) | instskip(NEXT) | instid1(VALU_DEP_1)
	v_lshlrev_b64 v[3:4], 2, v[3:4]
	v_add_co_u32 v3, vcc_lo, s0, v3
	s_delay_alu instid0(VALU_DEP_2)
	v_add_co_ci_u32_e32 v4, vcc_lo, s1, v4, vcc_lo
	global_load_b32 v3, v[3:4], off
.LBB12_13:
	v_mul_lo_u32 v4, v1, s4
	v_mov_b32_e32 v1, 0
	s_waitcnt vmcnt(0)
	v_mul_f32_e32 v3, s12, v3
	s_delay_alu instid0(VALU_DEP_1) | instskip(NEXT) | instid1(VALU_DEP_4)
	v_fmac_f32_e32 v3, s7, v2
	v_add3_u32 v0, v0, s21, v4
	s_delay_alu instid0(VALU_DEP_1) | instskip(NEXT) | instid1(VALU_DEP_1)
	v_lshlrev_b64 v[0:1], 2, v[0:1]
	v_add_co_u32 v0, vcc_lo, s8, v0
	s_delay_alu instid0(VALU_DEP_2)
	v_add_co_ci_u32_e32 v1, vcc_lo, s9, v1, vcc_lo
	global_store_b32 v[0:1], v3, off
.LBB12_14:
	s_endpgm
	.section	.rodata,"a",@progbits
	.p2align	6, 0x0
	.amdhsa_kernel Transform_S_S_010_16_16_VW_1
		.amdhsa_group_segment_fixed_size 0
		.amdhsa_private_segment_fixed_size 64
		.amdhsa_kernarg_size 344
		.amdhsa_user_sgpr_count 14
		.amdhsa_user_sgpr_dispatch_ptr 0
		.amdhsa_user_sgpr_queue_ptr 0
		.amdhsa_user_sgpr_kernarg_segment_ptr 1
		.amdhsa_user_sgpr_dispatch_id 0
		.amdhsa_user_sgpr_private_segment_size 0
		.amdhsa_wavefront_size32 1
		.amdhsa_uses_dynamic_stack 0
		.amdhsa_enable_private_segment 1
		.amdhsa_system_sgpr_workgroup_id_x 1
		.amdhsa_system_sgpr_workgroup_id_y 0
		.amdhsa_system_sgpr_workgroup_id_z 1
		.amdhsa_system_sgpr_workgroup_info 0
		.amdhsa_system_vgpr_workitem_id 0
		.amdhsa_next_free_vgpr 42
		.amdhsa_next_free_sgpr 34
		.amdhsa_reserve_vcc 1
		.amdhsa_float_round_mode_32 0
		.amdhsa_float_round_mode_16_64 0
		.amdhsa_float_denorm_mode_32 3
		.amdhsa_float_denorm_mode_16_64 3
		.amdhsa_dx10_clamp 1
		.amdhsa_ieee_mode 1
		.amdhsa_fp16_overflow 0
		.amdhsa_workgroup_processor_mode 1
		.amdhsa_memory_ordered 1
		.amdhsa_forward_progress 0
		.amdhsa_shared_vgpr_count 0
		.amdhsa_exception_fp_ieee_invalid_op 0
		.amdhsa_exception_fp_denorm_src 0
		.amdhsa_exception_fp_ieee_div_zero 0
		.amdhsa_exception_fp_ieee_overflow 0
		.amdhsa_exception_fp_ieee_underflow 0
		.amdhsa_exception_fp_ieee_inexact 0
		.amdhsa_exception_int_div_zero 0
	.end_amdhsa_kernel
	.text
.Lfunc_end12:
	.size	Transform_S_S_010_16_16_VW_1, .Lfunc_end12-Transform_S_S_010_16_16_VW_1
                                        ; -- End function
	.section	.AMDGPU.csdata,"",@progbits
; Kernel info:
; codeLenInByte = 744
; NumSgprs: 36
; NumVgprs: 42
; ScratchSize: 64
; MemoryBound: 0
; FloatMode: 240
; IeeeMode: 1
; LDSByteSize: 0 bytes/workgroup (compile time only)
; SGPRBlocks: 4
; VGPRBlocks: 5
; NumSGPRsForWavesPerEU: 36
; NumVGPRsForWavesPerEU: 42
; Occupancy: 16
; WaveLimiterHint : 1
; COMPUTE_PGM_RSRC2:SCRATCH_EN: 1
; COMPUTE_PGM_RSRC2:USER_SGPR: 14
; COMPUTE_PGM_RSRC2:TRAP_HANDLER: 0
; COMPUTE_PGM_RSRC2:TGID_X_EN: 1
; COMPUTE_PGM_RSRC2:TGID_Y_EN: 0
; COMPUTE_PGM_RSRC2:TGID_Z_EN: 1
; COMPUTE_PGM_RSRC2:TIDIG_COMP_CNT: 0
	.text
	.protected	Transform_S_S_010_16_16_VW_4 ; -- Begin function Transform_S_S_010_16_16_VW_4
	.globl	Transform_S_S_010_16_16_VW_4
	.p2align	8
	.type	Transform_S_S_010_16_16_VW_4,@function
Transform_S_S_010_16_16_VW_4:           ; @Transform_S_S_010_16_16_VW_4
; %bb.0:
	s_mov_b64 s[22:23], s[0:1]
	s_load_b32 s0, s[0:1], 0x64
	v_mov_b32_e32 v41, v0
	s_mov_b32 s24, s15
	s_mov_b32 s21, s14
	;; [unrolled: 1-line block ×3, first 2 shown]
	s_waitcnt lgkmcnt(0)
	v_cmp_eq_u16_e64 s0, 0x100, s0
	s_delay_alu instid0(VALU_DEP_1)
	s_and_b32 vcc_lo, exec_lo, s0
	s_mov_b32 s0, -1
	s_cbranch_vccnz .LBB13_2
; %bb.1:
	s_add_u32 s8, s22, 0x58
	s_addc_u32 s9, s23, 0
	s_getpc_b64 s[0:1]
	s_add_u32 s0, s0, __PRETTY_FUNCTION__._ZN10amd_detail9transformIffLb0ELb1ELb0ELj16ELj16ELj4EEEvPT_PKS1_S4_T0_PKS5_S5_S7_jjjjjjbb@rel32@lo+4
	s_addc_u32 s1, s1, __PRETTY_FUNCTION__._ZN10amd_detail9transformIffLb0ELb1ELb0ELj16ELj16ELj4EEEvPT_PKS1_S4_T0_PKS5_S5_S7_jjjjjjbb@rel32@hi+12
	s_delay_alu instid0(SALU_CYCLE_1) | instskip(SKIP_3) | instid1(SALU_CYCLE_1)
	v_dual_mov_b32 v0, s0 :: v_dual_mov_b32 v1, s1
	s_getpc_b64 s[2:3]
	s_add_u32 s2, s2, __assert_fail@rel32@lo+4
	s_addc_u32 s3, s3, __assert_fail@rel32@hi+12
	s_swappc_b64 s[30:31], s[2:3]
	; divergent unreachable
	s_mov_b32 s0, 0
.LBB13_2:
	s_delay_alu instid0(SALU_CYCLE_1)
	s_and_not1_b32 vcc_lo, exec_lo, s0
	s_cbranch_vccnz .LBB13_55
; %bb.3:
	s_load_b256 s[4:11], s[22:23], 0x38
	s_waitcnt lgkmcnt(0)
	s_and_b32 s0, s4, 63
	s_lshr_b32 s1, s4, 6
	s_cmp_lg_u32 s0, 0
	s_cselect_b32 s0, -1, 0
	s_delay_alu instid0(SALU_CYCLE_1) | instskip(SKIP_4) | instid1(VALU_DEP_1)
	s_cmp_lg_u32 s0, 0
	s_addc_u32 s2, s1, 0
	s_load_b64 s[0:1], s[22:23], 0x20
	v_cvt_f32_u32_e32 v0, s2
	s_sub_i32 s11, 0, s2
	v_rcp_iflag_f32_e32 v0, v0
	s_waitcnt_depctr 0xfff
	v_mul_f32_e32 v0, 0x4f7ffffe, v0
	s_delay_alu instid0(VALU_DEP_1) | instskip(NEXT) | instid1(VALU_DEP_1)
	v_cvt_u32_f32_e32 v0, v0
	v_readfirstlane_b32 s3, v0
	s_delay_alu instid0(VALU_DEP_1) | instskip(NEXT) | instid1(SALU_CYCLE_1)
	s_mul_i32 s11, s11, s3
	s_mul_hi_u32 s11, s3, s11
	s_delay_alu instid0(SALU_CYCLE_1)
	s_add_i32 s3, s3, s11
	s_waitcnt lgkmcnt(0)
	s_cmp_eq_u64 s[0:1], 0
	s_mul_hi_u32 s3, s21, s3
	s_cbranch_scc1 .LBB13_6
; %bb.4:
	s_load_b32 s11, s[0:1], 0x0
	s_load_b64 s[0:1], s[22:23], 0x30
	s_waitcnt lgkmcnt(0)
	s_cmp_eq_u64 s[0:1], 0
	s_cbranch_scc1 .LBB13_7
.LBB13_5:
	s_load_b32 s16, s[0:1], 0x0
	s_branch .LBB13_8
.LBB13_6:
	s_clause 0x1
	s_load_b32 s11, s[22:23], 0x18
	s_load_b64 s[0:1], s[22:23], 0x30
	s_waitcnt lgkmcnt(0)
	s_cmp_eq_u64 s[0:1], 0
	s_cbranch_scc0 .LBB13_5
.LBB13_7:
	s_load_b32 s16, s[22:23], 0x28
.LBB13_8:
	s_mul_i32 s0, s3, s2
	s_add_i32 s1, s3, 1
	s_sub_i32 s0, s21, s0
	v_lshrrev_b32_e32 v0, 4, v41
	s_sub_i32 s12, s0, s2
	s_cmp_ge_u32 s0, s2
	s_cselect_b32 s1, s1, s3
	s_cselect_b32 s0, s12, s0
	s_add_i32 s3, s1, 1
	s_cmp_ge_u32 s0, s2
	s_mov_b32 s0, exec_lo
	s_cselect_b32 s1, s3, s1
	s_delay_alu instid0(SALU_CYCLE_1) | instskip(NEXT) | instid1(VALU_DEP_1)
	v_lshl_add_u32 v0, s1, 4, v0
	v_cmpx_gt_u32_e64 s5, v0
	s_cbranch_execz .LBB13_55
; %bb.9:
	v_dual_mov_b32 v8, 0 :: v_dual_lshlrev_b32 v1, 2, v41
	s_mul_i32 s1, s1, s2
	s_clause 0x1
	s_load_b128 s[12:15], s[22:23], 0x0
	s_load_b64 s[2:3], s[22:23], 0x10
	v_and_b32_e32 v9, 60, v1
	s_sub_i32 s0, s21, s1
	s_bitcmp1_b32 s10, 0
	s_mul_i32 s24, s24, s9
	s_cselect_b32 vcc_lo, -1, 0
	v_lshl_or_b32 v11, s0, 6, v9
	s_delay_alu instid0(VALU_DEP_1) | instskip(NEXT) | instid1(VALU_DEP_1)
	v_dual_mov_b32 v13, 0 :: v_dual_add_nc_u32 v12, 4, v11
	v_sub_nc_u32_e64 v10, v12, s4 clamp
	s_waitcnt lgkmcnt(0)
	s_cmp_lg_u64 s[14:15], 0
	s_cselect_b32 s5, -1, 0
	s_delay_alu instid0(VALU_DEP_1) | instskip(SKIP_1) | instid1(VALU_DEP_1)
	v_sub_nc_u32_e32 v1, v11, v10
	s_cmp_eq_u64 s[14:15], 0
	v_mad_u64_u32 v[4:5], null, v0, s6, v[1:2]
	s_cbranch_scc1 .LBB13_11
; %bb.10:
	v_mad_u64_u32 v[2:3], null, v1, s6, v[0:1]
	s_delay_alu instid0(VALU_DEP_1) | instskip(NEXT) | instid1(VALU_DEP_1)
	v_dual_mov_b32 v3, 0 :: v_dual_cndmask_b32 v2, v4, v2
	v_add_nc_u32_e32 v2, s24, v2
	s_delay_alu instid0(VALU_DEP_1) | instskip(NEXT) | instid1(VALU_DEP_1)
	v_lshlrev_b64 v[2:3], 2, v[2:3]
	v_add_co_u32 v2, s0, s14, v2
	s_delay_alu instid0(VALU_DEP_1)
	v_add_co_ci_u32_e64 v3, s0, s15, v3, s0
	global_load_b32 v13, v[2:3], off
.LBB13_11:
	s_load_b32 s0, s[22:23], 0x50
	v_mad_u64_u32 v[2:3], null, v0, s7, v[1:2]
	s_xor_b32 s10, vcc_lo, -1
	s_waitcnt lgkmcnt(0)
	s_bitcmp1_b32 s0, 8
	s_cselect_b32 s0, -1, 0
	s_cmp_lg_u64 s[2:3], 0
	s_cselect_b32 s9, -1, 0
	s_cmp_eq_u64 s[2:3], 0
	s_cbranch_scc1 .LBB13_13
; %bb.12:
	v_mad_u64_u32 v[5:6], null, v1, s7, v[0:1]
	s_delay_alu instid0(VALU_DEP_1) | instskip(NEXT) | instid1(VALU_DEP_1)
	v_cndmask_b32_e64 v3, v5, v2, s0
	v_dual_mov_b32 v6, 0 :: v_dual_add_nc_u32 v5, s24, v3
	s_delay_alu instid0(VALU_DEP_1) | instskip(NEXT) | instid1(VALU_DEP_1)
	v_lshlrev_b64 v[5:6], 2, v[5:6]
	v_add_co_u32 v5, vcc_lo, s2, v5
	s_delay_alu instid0(VALU_DEP_2)
	v_add_co_ci_u32_e32 v6, vcc_lo, s3, v6, vcc_lo
	global_load_b32 v8, v[5:6], off
.LBB13_13:
	v_cndmask_b32_e64 v3, 0, 1, s10
	s_and_not1_b32 vcc_lo, exec_lo, s10
	s_cbranch_vccnz .LBB13_15
; %bb.14:
	v_add_nc_u32_e32 v5, 1, v4
	s_xor_b32 s0, s0, -1
	s_cbranch_execz .LBB13_16
	s_branch .LBB13_17
.LBB13_15:
                                        ; implicit-def: $vgpr5
	s_xor_b32 s0, s0, -1
.LBB13_16:
	v_mul_lo_u32 v5, s6, v1
	s_delay_alu instid0(VALU_DEP_1)
	v_add3_u32 v5, v5, s6, v0
.LBB13_17:
	v_cndmask_b32_e64 v16, 0, 1, s0
	s_and_not1_b32 vcc_lo, exec_lo, s0
	s_cbranch_vccnz .LBB13_19
; %bb.18:
	v_mul_lo_u32 v6, s7, v1
	s_delay_alu instid0(VALU_DEP_1)
	v_add3_u32 v6, v6, s7, v0
	s_cbranch_execz .LBB13_20
	s_branch .LBB13_21
.LBB13_19:
                                        ; implicit-def: $vgpr6
.LBB13_20:
	v_add_nc_u32_e32 v6, 1, v2
.LBB13_21:
	v_cndmask_b32_e64 v17, 0, 1, s5
	v_dual_mov_b32 v15, 0 :: v_dual_mov_b32 v14, 0
	s_and_not1_b32 vcc_lo, exec_lo, s5
	s_cbranch_vccnz .LBB13_23
; %bb.22:
	v_dual_mov_b32 v19, 0 :: v_dual_add_nc_u32 v18, s24, v5
	s_delay_alu instid0(VALU_DEP_1) | instskip(NEXT) | instid1(VALU_DEP_1)
	v_lshlrev_b64 v[18:19], 2, v[18:19]
	v_add_co_u32 v18, vcc_lo, s14, v18
	s_delay_alu instid0(VALU_DEP_2)
	v_add_co_ci_u32_e32 v19, vcc_lo, s15, v19, vcc_lo
	global_load_b32 v14, v[18:19], off
.LBB13_23:
	v_cndmask_b32_e64 v18, 0, 1, s9
	s_and_not1_b32 vcc_lo, exec_lo, s9
	s_cbranch_vccnz .LBB13_25
; %bb.24:
	v_dual_mov_b32 v6, 0 :: v_dual_add_nc_u32 v5, s24, v6
	s_delay_alu instid0(VALU_DEP_1) | instskip(NEXT) | instid1(VALU_DEP_1)
	v_lshlrev_b64 v[5:6], 2, v[5:6]
	v_add_co_u32 v5, vcc_lo, s2, v5
	s_delay_alu instid0(VALU_DEP_2)
	v_add_co_ci_u32_e32 v6, vcc_lo, s3, v6, vcc_lo
	global_load_b32 v15, v[5:6], off
.LBB13_25:
	v_cmp_ne_u32_e32 vcc_lo, 1, v3
	s_cbranch_vccnz .LBB13_27
; %bb.26:
	v_add_nc_u32_e32 v5, 2, v4
	v_add_nc_u32_e32 v19, 2, v1
	s_cbranch_execz .LBB13_28
	s_branch .LBB13_29
.LBB13_27:
                                        ; implicit-def: $vgpr5
	v_add_nc_u32_e32 v19, 2, v1
.LBB13_28:
	s_delay_alu instid0(VALU_DEP_1)
	v_mad_u64_u32 v[5:6], null, v19, s6, v[0:1]
.LBB13_29:
	v_cmp_ne_u32_e32 vcc_lo, 1, v16
	s_cbranch_vccnz .LBB13_31
; %bb.30:
	v_mad_u64_u32 v[6:7], null, v19, s7, v[0:1]
	s_cbranch_execz .LBB13_32
	s_branch .LBB13_33
.LBB13_31:
                                        ; implicit-def: $vgpr6
.LBB13_32:
	v_add_nc_u32_e32 v6, 2, v2
.LBB13_33:
	v_cmp_ne_u32_e32 vcc_lo, 1, v17
	v_mov_b32_e32 v19, 0
	v_mov_b32_e32 v7, 0
	s_cbranch_vccnz .LBB13_35
; %bb.34:
	v_dual_mov_b32 v21, 0 :: v_dual_add_nc_u32 v20, s24, v5
	s_delay_alu instid0(VALU_DEP_1) | instskip(NEXT) | instid1(VALU_DEP_1)
	v_lshlrev_b64 v[20:21], 2, v[20:21]
	v_add_co_u32 v20, vcc_lo, s14, v20
	s_delay_alu instid0(VALU_DEP_2)
	v_add_co_ci_u32_e32 v21, vcc_lo, s15, v21, vcc_lo
	global_load_b32 v7, v[20:21], off
.LBB13_35:
	v_cmp_ne_u32_e32 vcc_lo, 1, v18
	s_cbranch_vccnz .LBB13_37
; %bb.36:
	v_dual_mov_b32 v6, 0 :: v_dual_add_nc_u32 v5, s24, v6
	s_delay_alu instid0(VALU_DEP_1) | instskip(NEXT) | instid1(VALU_DEP_1)
	v_lshlrev_b64 v[5:6], 2, v[5:6]
	v_add_co_u32 v5, vcc_lo, s2, v5
	s_delay_alu instid0(VALU_DEP_2)
	v_add_co_ci_u32_e32 v6, vcc_lo, s3, v6, vcc_lo
	global_load_b32 v19, v[5:6], off
.LBB13_37:
	v_cmp_ne_u32_e32 vcc_lo, 1, v3
	s_cbranch_vccnz .LBB13_39
; %bb.38:
	v_add_nc_u32_e32 v3, 3, v4
	v_add_nc_u32_e32 v1, 3, v1
	s_cbranch_execz .LBB13_40
	s_branch .LBB13_41
.LBB13_39:
                                        ; implicit-def: $vgpr3
	v_add_nc_u32_e32 v1, 3, v1
.LBB13_40:
	s_delay_alu instid0(VALU_DEP_1)
	v_mad_u64_u32 v[3:4], null, v1, s6, v[0:1]
.LBB13_41:
	v_cmp_ne_u32_e32 vcc_lo, 1, v16
	s_cbranch_vccnz .LBB13_43
; %bb.42:
	v_mad_u64_u32 v[4:5], null, v1, s7, v[0:1]
	s_cbranch_execz .LBB13_44
	s_branch .LBB13_45
.LBB13_43:
                                        ; implicit-def: $vgpr4
.LBB13_44:
	v_add_nc_u32_e32 v4, 3, v2
.LBB13_45:
	v_cmp_ne_u32_e32 vcc_lo, 1, v17
	v_dual_mov_b32 v5, 0 :: v_dual_mov_b32 v2, 0
	s_cbranch_vccnz .LBB13_47
; %bb.46:
	v_dual_mov_b32 v2, 0 :: v_dual_add_nc_u32 v1, s24, v3
	s_delay_alu instid0(VALU_DEP_1) | instskip(NEXT) | instid1(VALU_DEP_1)
	v_lshlrev_b64 v[1:2], 2, v[1:2]
	v_add_co_u32 v1, vcc_lo, s14, v1
	s_delay_alu instid0(VALU_DEP_2)
	v_add_co_ci_u32_e32 v2, vcc_lo, s15, v2, vcc_lo
	global_load_b32 v2, v[1:2], off
.LBB13_47:
	v_cmp_ne_u32_e32 vcc_lo, 1, v18
	s_cbranch_vccnz .LBB13_49
; %bb.48:
	v_dual_mov_b32 v4, 0 :: v_dual_add_nc_u32 v3, s24, v4
	s_delay_alu instid0(VALU_DEP_1) | instskip(NEXT) | instid1(VALU_DEP_1)
	v_lshlrev_b64 v[3:4], 2, v[3:4]
	v_add_co_u32 v3, vcc_lo, s2, v3
	s_delay_alu instid0(VALU_DEP_2)
	v_add_co_ci_u32_e32 v4, vcc_lo, s3, v4, vcc_lo
	global_load_b32 v5, v[3:4], off
.LBB13_49:
	s_waitcnt vmcnt(0)
	v_dual_mul_f32 v16, s16, v8 :: v_dual_mul_f32 v1, s16, v15
	v_mul_f32_e32 v4, s16, v19
	v_mul_f32_e32 v8, s16, v5
	s_mov_b32 s0, exec_lo
	s_delay_alu instid0(VALU_DEP_3)
	v_dual_fmac_f32 v16, s11, v13 :: v_dual_fmac_f32 v1, s11, v14
	v_mul_lo_u32 v13, v0, s8
	v_fmac_f32_e32 v4, s11, v7
	v_fmac_f32_e32 v8, s11, v2
	v_cmpx_ge_u32_e64 s4, v12
	s_xor_b32 s0, exec_lo, s0
	s_cbranch_execz .LBB13_51
; %bb.50:
	v_dual_mov_b32 v3, 0 :: v_dual_add_nc_u32 v0, s24, v11
	s_delay_alu instid0(VALU_DEP_1) | instskip(NEXT) | instid1(VALU_DEP_1)
	v_sub_nc_u32_e32 v0, v0, v10
	v_add_nc_u32_e32 v2, v0, v13
	s_delay_alu instid0(VALU_DEP_3) | instskip(SKIP_1) | instid1(VALU_DEP_3)
	v_mov_b32_e32 v6, v3
	v_mov_b32_e32 v10, v3
                                        ; implicit-def: $vgpr13
	v_add_nc_u32_e32 v9, 2, v2
	v_add_nc_u32_e32 v5, 1, v2
	v_lshlrev_b64 v[11:12], 2, v[2:3]
	v_add_nc_u32_e32 v2, 3, v2
	s_delay_alu instid0(VALU_DEP_4) | instskip(NEXT) | instid1(VALU_DEP_4)
	v_lshlrev_b64 v[9:10], 2, v[9:10]
	v_lshlrev_b64 v[5:6], 2, v[5:6]
	s_delay_alu instid0(VALU_DEP_4) | instskip(SKIP_2) | instid1(VALU_DEP_4)
	v_add_co_u32 v11, vcc_lo, s12, v11
	v_add_co_ci_u32_e32 v12, vcc_lo, s13, v12, vcc_lo
	v_lshlrev_b64 v[2:3], 2, v[2:3]
	v_add_co_u32 v5, vcc_lo, s12, v5
	v_add_co_ci_u32_e32 v6, vcc_lo, s13, v6, vcc_lo
	v_add_co_u32 v9, vcc_lo, s12, v9
	v_add_co_ci_u32_e32 v10, vcc_lo, s13, v10, vcc_lo
	;; [unrolled: 2-line block ×3, first 2 shown]
	s_clause 0x3
	global_store_b32 v[11:12], v16, off
	global_store_b32 v[5:6], v1, off
	;; [unrolled: 1-line block ×4, first 2 shown]
                                        ; implicit-def: $vgpr0_vgpr1_vgpr2_vgpr3
                                        ; implicit-def: $vgpr2_vgpr3_vgpr4_vgpr5
                                        ; implicit-def: $vgpr10
                                        ; implicit-def: $vgpr16
                                        ; implicit-def: $vgpr9
                                        ; implicit-def: $vgpr5_vgpr6_vgpr7_vgpr8
.LBB13_51:
	s_and_not1_saveexec_b32 s0, s0
	s_cbranch_execz .LBB13_55
; %bb.52:
	v_cmp_gt_u32_e32 vcc_lo, 4, v10
	s_and_b32 exec_lo, exec_lo, vcc_lo
	s_cbranch_execz .LBB13_55
; %bb.53:
	v_lshl_or_b32 v0, s21, 6, v9
	s_lshl_b32 s0, s1, 6
	s_mov_b32 s1, 0
	s_delay_alu instid0(VALU_DEP_1) | instskip(SKIP_1) | instid1(VALU_DEP_2)
	v_subrev_nc_u32_e32 v2, s0, v0
	v_add3_u32 v0, s24, v13, v0
	v_add_nc_u32_e32 v3, 4, v2
	s_delay_alu instid0(VALU_DEP_1) | instskip(NEXT) | instid1(VALU_DEP_1)
	v_min_u32_e32 v3, s4, v3
	v_sub_nc_u32_e32 v3, v2, v3
	s_delay_alu instid0(VALU_DEP_4) | instskip(NEXT) | instid1(VALU_DEP_2)
	v_subrev_nc_u32_e32 v2, s0, v0
	v_dual_mov_b32 v3, 0 :: v_dual_add_nc_u32 v0, 3, v3
	.p2align	6
.LBB13_54:                              ; =>This Inner Loop Header: Depth=1
	s_delay_alu instid0(VALU_DEP_1) | instskip(NEXT) | instid1(VALU_DEP_2)
	v_add_nc_u32_e32 v0, 1, v0
	v_lshlrev_b64 v[5:6], 2, v[2:3]
	v_add_nc_u32_e32 v2, 1, v2
	s_delay_alu instid0(VALU_DEP_3) | instskip(SKIP_3) | instid1(VALU_DEP_2)
	v_cmp_eq_u32_e32 vcc_lo, 1, v0
	v_cndmask_b32_e32 v7, v16, v1, vcc_lo
	v_cmp_eq_u32_e64 s0, 2, v0
	v_cmp_lt_u32_e32 vcc_lo, 2, v0
	v_cndmask_b32_e64 v7, v7, v4, s0
	v_add_co_u32 v5, s0, s12, v5
	s_delay_alu instid0(VALU_DEP_1) | instskip(SKIP_2) | instid1(VALU_DEP_1)
	v_add_co_ci_u32_e64 v6, s0, s13, v6, s0
	v_cmp_eq_u32_e64 s0, 3, v0
	s_or_b32 s1, vcc_lo, s1
	v_cndmask_b32_e64 v7, v7, v8, s0
	global_store_b32 v[5:6], v7, off
	s_and_not1_b32 exec_lo, exec_lo, s1
	s_cbranch_execnz .LBB13_54
.LBB13_55:
	s_endpgm
	.section	.rodata,"a",@progbits
	.p2align	6, 0x0
	.amdhsa_kernel Transform_S_S_010_16_16_VW_4
		.amdhsa_group_segment_fixed_size 0
		.amdhsa_private_segment_fixed_size 64
		.amdhsa_kernarg_size 344
		.amdhsa_user_sgpr_count 14
		.amdhsa_user_sgpr_dispatch_ptr 0
		.amdhsa_user_sgpr_queue_ptr 0
		.amdhsa_user_sgpr_kernarg_segment_ptr 1
		.amdhsa_user_sgpr_dispatch_id 0
		.amdhsa_user_sgpr_private_segment_size 0
		.amdhsa_wavefront_size32 1
		.amdhsa_uses_dynamic_stack 0
		.amdhsa_enable_private_segment 1
		.amdhsa_system_sgpr_workgroup_id_x 1
		.amdhsa_system_sgpr_workgroup_id_y 0
		.amdhsa_system_sgpr_workgroup_id_z 1
		.amdhsa_system_sgpr_workgroup_info 0
		.amdhsa_system_vgpr_workitem_id 0
		.amdhsa_next_free_vgpr 42
		.amdhsa_next_free_sgpr 34
		.amdhsa_reserve_vcc 1
		.amdhsa_float_round_mode_32 0
		.amdhsa_float_round_mode_16_64 0
		.amdhsa_float_denorm_mode_32 3
		.amdhsa_float_denorm_mode_16_64 3
		.amdhsa_dx10_clamp 1
		.amdhsa_ieee_mode 1
		.amdhsa_fp16_overflow 0
		.amdhsa_workgroup_processor_mode 1
		.amdhsa_memory_ordered 1
		.amdhsa_forward_progress 0
		.amdhsa_shared_vgpr_count 0
		.amdhsa_exception_fp_ieee_invalid_op 0
		.amdhsa_exception_fp_denorm_src 0
		.amdhsa_exception_fp_ieee_div_zero 0
		.amdhsa_exception_fp_ieee_overflow 0
		.amdhsa_exception_fp_ieee_underflow 0
		.amdhsa_exception_fp_ieee_inexact 0
		.amdhsa_exception_int_div_zero 0
	.end_amdhsa_kernel
	.text
.Lfunc_end13:
	.size	Transform_S_S_010_16_16_VW_4, .Lfunc_end13-Transform_S_S_010_16_16_VW_4
                                        ; -- End function
	.section	.AMDGPU.csdata,"",@progbits
; Kernel info:
; codeLenInByte = 1732
; NumSgprs: 36
; NumVgprs: 42
; ScratchSize: 64
; MemoryBound: 0
; FloatMode: 240
; IeeeMode: 1
; LDSByteSize: 0 bytes/workgroup (compile time only)
; SGPRBlocks: 4
; VGPRBlocks: 5
; NumSGPRsForWavesPerEU: 36
; NumVGPRsForWavesPerEU: 42
; Occupancy: 16
; WaveLimiterHint : 1
; COMPUTE_PGM_RSRC2:SCRATCH_EN: 1
; COMPUTE_PGM_RSRC2:USER_SGPR: 14
; COMPUTE_PGM_RSRC2:TRAP_HANDLER: 0
; COMPUTE_PGM_RSRC2:TGID_X_EN: 1
; COMPUTE_PGM_RSRC2:TGID_Y_EN: 0
; COMPUTE_PGM_RSRC2:TGID_Z_EN: 1
; COMPUTE_PGM_RSRC2:TIDIG_COMP_CNT: 0
	.text
	.protected	Transform_S_S_001_16_16_VW_1 ; -- Begin function Transform_S_S_001_16_16_VW_1
	.globl	Transform_S_S_001_16_16_VW_1
	.p2align	8
	.type	Transform_S_S_001_16_16_VW_1,@function
Transform_S_S_001_16_16_VW_1:           ; @Transform_S_S_001_16_16_VW_1
; %bb.0:
	s_mov_b64 s[22:23], s[0:1]
	s_load_b32 s0, s[0:1], 0x64
	v_mov_b32_e32 v41, v0
	s_mov_b32 s21, s15
	s_mov_b32 s24, s14
	;; [unrolled: 1-line block ×3, first 2 shown]
	s_waitcnt lgkmcnt(0)
	v_cmp_eq_u16_e64 s0, 0x100, s0
	s_delay_alu instid0(VALU_DEP_1)
	s_and_b32 vcc_lo, exec_lo, s0
	s_mov_b32 s0, -1
	s_cbranch_vccnz .LBB14_2
; %bb.1:
	s_add_u32 s8, s22, 0x58
	s_addc_u32 s9, s23, 0
	s_getpc_b64 s[0:1]
	s_add_u32 s0, s0, __PRETTY_FUNCTION__._ZN10amd_detail9transformIffLb0ELb0ELb1ELj16ELj16ELj1EEEvPT_PKS1_S4_T0_PKS5_S5_S7_jjjjjjbb@rel32@lo+4
	s_addc_u32 s1, s1, __PRETTY_FUNCTION__._ZN10amd_detail9transformIffLb0ELb0ELb1ELj16ELj16ELj1EEEvPT_PKS1_S4_T0_PKS5_S5_S7_jjjjjjbb@rel32@hi+12
	s_delay_alu instid0(SALU_CYCLE_1) | instskip(SKIP_3) | instid1(SALU_CYCLE_1)
	v_dual_mov_b32 v0, s0 :: v_dual_mov_b32 v1, s1
	s_getpc_b64 s[2:3]
	s_add_u32 s2, s2, __assert_fail@rel32@lo+4
	s_addc_u32 s3, s3, __assert_fail@rel32@hi+12
	s_swappc_b64 s[30:31], s[2:3]
	; divergent unreachable
	s_mov_b32 s0, 0
.LBB14_2:
	s_delay_alu instid0(SALU_CYCLE_1)
	s_and_not1_b32 vcc_lo, exec_lo, s0
	s_cbranch_vccnz .LBB14_14
; %bb.3:
	s_load_b256 s[0:7], s[22:23], 0x38
	s_waitcnt lgkmcnt(0)
	s_and_b32 s7, s0, 15
	s_lshr_b32 s8, s0, 4
	s_cmp_lg_u32 s7, 0
	s_cselect_b32 s7, -1, 0
	s_delay_alu instid0(SALU_CYCLE_1) | instskip(SKIP_4) | instid1(VALU_DEP_1)
	s_cmp_lg_u32 s7, 0
	s_addc_u32 s10, s8, 0
	s_load_b64 s[8:9], s[22:23], 0x20
	v_cvt_f32_u32_e32 v0, s10
	s_sub_i32 s11, 0, s10
	v_rcp_iflag_f32_e32 v0, v0
	s_waitcnt_depctr 0xfff
	v_mul_f32_e32 v0, 0x4f7ffffe, v0
	s_delay_alu instid0(VALU_DEP_1) | instskip(NEXT) | instid1(VALU_DEP_1)
	v_cvt_u32_f32_e32 v0, v0
	v_readfirstlane_b32 s7, v0
	s_delay_alu instid0(VALU_DEP_1) | instskip(NEXT) | instid1(SALU_CYCLE_1)
	s_mul_i32 s11, s11, s7
	s_mul_hi_u32 s11, s7, s11
	s_delay_alu instid0(SALU_CYCLE_1)
	s_add_i32 s7, s7, s11
	s_waitcnt lgkmcnt(0)
	s_cmp_eq_u64 s[8:9], 0
	s_mul_hi_u32 s11, s24, s7
	s_cbranch_scc1 .LBB14_6
; %bb.4:
	s_load_b32 s7, s[8:9], 0x0
	s_load_b64 s[8:9], s[22:23], 0x30
	s_waitcnt lgkmcnt(0)
	s_cmp_eq_u64 s[8:9], 0
	s_cbranch_scc1 .LBB14_7
.LBB14_5:
	s_load_b32 s12, s[8:9], 0x0
	s_branch .LBB14_8
.LBB14_6:
	s_clause 0x1
	s_load_b32 s7, s[22:23], 0x18
	s_load_b64 s[8:9], s[22:23], 0x30
	s_waitcnt lgkmcnt(0)
	s_cmp_eq_u64 s[8:9], 0
	s_cbranch_scc0 .LBB14_5
.LBB14_7:
	s_load_b32 s12, s[22:23], 0x28
.LBB14_8:
	s_mul_i32 s8, s11, s10
	s_add_i32 s9, s11, 1
	s_sub_i32 s8, s24, s8
	v_and_b32_e32 v0, 15, v41
	s_sub_i32 s13, s8, s10
	s_cmp_ge_u32 s8, s10
	v_lshrrev_b32_e32 v2, 4, v41
	s_cselect_b32 s9, s9, s11
	s_cselect_b32 s8, s13, s8
	s_add_i32 s11, s9, 1
	s_cmp_ge_u32 s8, s10
	s_cselect_b32 s8, s11, s9
	s_delay_alu instid0(SALU_CYCLE_1) | instskip(NEXT) | instid1(SALU_CYCLE_1)
	s_mul_i32 s9, s8, s10
	s_sub_i32 s9, s24, s9
	s_delay_alu instid0(SALU_CYCLE_1) | instskip(SKIP_1) | instid1(VALU_DEP_2)
	v_lshl_or_b32 v1, s9, 4, v0
	v_lshl_add_u32 v0, s8, 4, v2
	v_cmp_gt_u32_e32 vcc_lo, s0, v1
	s_delay_alu instid0(VALU_DEP_2) | instskip(NEXT) | instid1(VALU_DEP_1)
	v_cmp_gt_u32_e64 s0, s1, v0
	s_and_b32 s0, vcc_lo, s0
	s_delay_alu instid0(SALU_CYCLE_1)
	s_and_saveexec_b32 s1, s0
	s_cbranch_execz .LBB14_14
; %bb.9:
	s_clause 0x1
	s_load_b128 s[8:11], s[22:23], 0x0
	s_load_b64 s[0:1], s[22:23], 0x10
	v_dual_mov_b32 v3, 0 :: v_dual_mov_b32 v2, 0
	s_mul_i32 s21, s21, s5
	s_waitcnt lgkmcnt(0)
	s_cmp_eq_u64 s[10:11], 0
	s_cbranch_scc1 .LBB14_11
; %bb.10:
	s_bitcmp1_b32 s6, 0
	v_mov_b32_e32 v5, 0
	s_cselect_b32 vcc_lo, -1, 0
	v_cndmask_b32_e32 v2, v0, v1, vcc_lo
	v_cndmask_b32_e32 v4, v1, v0, vcc_lo
	s_delay_alu instid0(VALU_DEP_2) | instskip(NEXT) | instid1(VALU_DEP_1)
	v_mul_lo_u32 v2, v2, s2
	v_add3_u32 v4, v4, s21, v2
	s_delay_alu instid0(VALU_DEP_1) | instskip(NEXT) | instid1(VALU_DEP_1)
	v_lshlrev_b64 v[4:5], 2, v[4:5]
	v_add_co_u32 v4, vcc_lo, s10, v4
	s_delay_alu instid0(VALU_DEP_2)
	v_add_co_ci_u32_e32 v5, vcc_lo, s11, v5, vcc_lo
	global_load_b32 v2, v[4:5], off
.LBB14_11:
	s_cmp_eq_u64 s[0:1], 0
	s_cbranch_scc1 .LBB14_13
; %bb.12:
	s_load_b32 s2, s[22:23], 0x50
	v_mov_b32_e32 v4, 0
	s_waitcnt lgkmcnt(0)
	s_bitcmp1_b32 s2, 8
	s_cselect_b32 vcc_lo, -1, 0
	v_cndmask_b32_e32 v3, v0, v1, vcc_lo
	v_cndmask_b32_e32 v5, v1, v0, vcc_lo
	s_delay_alu instid0(VALU_DEP_2) | instskip(NEXT) | instid1(VALU_DEP_1)
	v_mul_lo_u32 v3, v3, s3
	v_add3_u32 v3, v5, s21, v3
	s_delay_alu instid0(VALU_DEP_1) | instskip(NEXT) | instid1(VALU_DEP_1)
	v_lshlrev_b64 v[3:4], 2, v[3:4]
	v_add_co_u32 v3, vcc_lo, s0, v3
	s_delay_alu instid0(VALU_DEP_2)
	v_add_co_ci_u32_e32 v4, vcc_lo, s1, v4, vcc_lo
	global_load_b32 v3, v[3:4], off
.LBB14_13:
	v_mul_lo_u32 v4, v1, s4
	v_mov_b32_e32 v1, 0
	s_waitcnt vmcnt(0)
	v_mul_f32_e32 v3, s12, v3
	s_delay_alu instid0(VALU_DEP_1) | instskip(NEXT) | instid1(VALU_DEP_4)
	v_fmac_f32_e32 v3, s7, v2
	v_add3_u32 v0, v0, s21, v4
	s_delay_alu instid0(VALU_DEP_1) | instskip(NEXT) | instid1(VALU_DEP_1)
	v_lshlrev_b64 v[0:1], 2, v[0:1]
	v_add_co_u32 v0, vcc_lo, s8, v0
	s_delay_alu instid0(VALU_DEP_2)
	v_add_co_ci_u32_e32 v1, vcc_lo, s9, v1, vcc_lo
	global_store_b32 v[0:1], v3, off
.LBB14_14:
	s_endpgm
	.section	.rodata,"a",@progbits
	.p2align	6, 0x0
	.amdhsa_kernel Transform_S_S_001_16_16_VW_1
		.amdhsa_group_segment_fixed_size 0
		.amdhsa_private_segment_fixed_size 64
		.amdhsa_kernarg_size 344
		.amdhsa_user_sgpr_count 14
		.amdhsa_user_sgpr_dispatch_ptr 0
		.amdhsa_user_sgpr_queue_ptr 0
		.amdhsa_user_sgpr_kernarg_segment_ptr 1
		.amdhsa_user_sgpr_dispatch_id 0
		.amdhsa_user_sgpr_private_segment_size 0
		.amdhsa_wavefront_size32 1
		.amdhsa_uses_dynamic_stack 0
		.amdhsa_enable_private_segment 1
		.amdhsa_system_sgpr_workgroup_id_x 1
		.amdhsa_system_sgpr_workgroup_id_y 0
		.amdhsa_system_sgpr_workgroup_id_z 1
		.amdhsa_system_sgpr_workgroup_info 0
		.amdhsa_system_vgpr_workitem_id 0
		.amdhsa_next_free_vgpr 42
		.amdhsa_next_free_sgpr 34
		.amdhsa_reserve_vcc 1
		.amdhsa_float_round_mode_32 0
		.amdhsa_float_round_mode_16_64 0
		.amdhsa_float_denorm_mode_32 3
		.amdhsa_float_denorm_mode_16_64 3
		.amdhsa_dx10_clamp 1
		.amdhsa_ieee_mode 1
		.amdhsa_fp16_overflow 0
		.amdhsa_workgroup_processor_mode 1
		.amdhsa_memory_ordered 1
		.amdhsa_forward_progress 0
		.amdhsa_shared_vgpr_count 0
		.amdhsa_exception_fp_ieee_invalid_op 0
		.amdhsa_exception_fp_denorm_src 0
		.amdhsa_exception_fp_ieee_div_zero 0
		.amdhsa_exception_fp_ieee_overflow 0
		.amdhsa_exception_fp_ieee_underflow 0
		.amdhsa_exception_fp_ieee_inexact 0
		.amdhsa_exception_int_div_zero 0
	.end_amdhsa_kernel
	.text
.Lfunc_end14:
	.size	Transform_S_S_001_16_16_VW_1, .Lfunc_end14-Transform_S_S_001_16_16_VW_1
                                        ; -- End function
	.section	.AMDGPU.csdata,"",@progbits
; Kernel info:
; codeLenInByte = 748
; NumSgprs: 36
; NumVgprs: 42
; ScratchSize: 64
; MemoryBound: 0
; FloatMode: 240
; IeeeMode: 1
; LDSByteSize: 0 bytes/workgroup (compile time only)
; SGPRBlocks: 4
; VGPRBlocks: 5
; NumSGPRsForWavesPerEU: 36
; NumVGPRsForWavesPerEU: 42
; Occupancy: 16
; WaveLimiterHint : 1
; COMPUTE_PGM_RSRC2:SCRATCH_EN: 1
; COMPUTE_PGM_RSRC2:USER_SGPR: 14
; COMPUTE_PGM_RSRC2:TRAP_HANDLER: 0
; COMPUTE_PGM_RSRC2:TGID_X_EN: 1
; COMPUTE_PGM_RSRC2:TGID_Y_EN: 0
; COMPUTE_PGM_RSRC2:TGID_Z_EN: 1
; COMPUTE_PGM_RSRC2:TIDIG_COMP_CNT: 0
	.text
	.protected	Transform_S_S_001_16_16_VW_4 ; -- Begin function Transform_S_S_001_16_16_VW_4
	.globl	Transform_S_S_001_16_16_VW_4
	.p2align	8
	.type	Transform_S_S_001_16_16_VW_4,@function
Transform_S_S_001_16_16_VW_4:           ; @Transform_S_S_001_16_16_VW_4
; %bb.0:
	s_mov_b64 s[22:23], s[0:1]
	s_load_b32 s0, s[0:1], 0x64
	v_mov_b32_e32 v41, v0
	s_mov_b32 s24, s15
	s_mov_b32 s21, s14
	;; [unrolled: 1-line block ×3, first 2 shown]
	s_waitcnt lgkmcnt(0)
	v_cmp_eq_u16_e64 s0, 0x100, s0
	s_delay_alu instid0(VALU_DEP_1)
	s_and_b32 vcc_lo, exec_lo, s0
	s_mov_b32 s0, -1
	s_cbranch_vccnz .LBB15_2
; %bb.1:
	s_add_u32 s8, s22, 0x58
	s_addc_u32 s9, s23, 0
	s_getpc_b64 s[0:1]
	s_add_u32 s0, s0, __PRETTY_FUNCTION__._ZN10amd_detail9transformIffLb0ELb0ELb1ELj16ELj16ELj4EEEvPT_PKS1_S4_T0_PKS5_S5_S7_jjjjjjbb@rel32@lo+4
	s_addc_u32 s1, s1, __PRETTY_FUNCTION__._ZN10amd_detail9transformIffLb0ELb0ELb1ELj16ELj16ELj4EEEvPT_PKS1_S4_T0_PKS5_S5_S7_jjjjjjbb@rel32@hi+12
	s_delay_alu instid0(SALU_CYCLE_1) | instskip(SKIP_3) | instid1(SALU_CYCLE_1)
	v_dual_mov_b32 v0, s0 :: v_dual_mov_b32 v1, s1
	s_getpc_b64 s[2:3]
	s_add_u32 s2, s2, __assert_fail@rel32@lo+4
	s_addc_u32 s3, s3, __assert_fail@rel32@hi+12
	s_swappc_b64 s[30:31], s[2:3]
	; divergent unreachable
	s_mov_b32 s0, 0
.LBB15_2:
	s_delay_alu instid0(SALU_CYCLE_1)
	s_and_not1_b32 vcc_lo, exec_lo, s0
	s_cbranch_vccnz .LBB15_55
; %bb.3:
	s_load_b128 s[0:3], s[22:23], 0x38
	s_waitcnt lgkmcnt(0)
	s_and_b32 s4, s0, 15
	s_lshr_b32 s5, s0, 4
	s_cmp_lg_u32 s4, 0
	s_cselect_b32 s4, -1, 0
	s_delay_alu instid0(SALU_CYCLE_1) | instskip(SKIP_4) | instid1(VALU_DEP_1)
	s_cmp_lg_u32 s4, 0
	s_addc_u32 s6, s5, 0
	s_load_b64 s[4:5], s[22:23], 0x20
	v_cvt_f32_u32_e32 v0, s6
	s_sub_i32 s8, 0, s6
	v_rcp_iflag_f32_e32 v0, v0
	s_waitcnt_depctr 0xfff
	v_mul_f32_e32 v0, 0x4f7ffffe, v0
	s_delay_alu instid0(VALU_DEP_1) | instskip(NEXT) | instid1(VALU_DEP_1)
	v_cvt_u32_f32_e32 v0, v0
	v_readfirstlane_b32 s7, v0
	s_delay_alu instid0(VALU_DEP_1) | instskip(NEXT) | instid1(SALU_CYCLE_1)
	s_mul_i32 s8, s8, s7
	s_mul_hi_u32 s8, s7, s8
	s_delay_alu instid0(SALU_CYCLE_1)
	s_add_i32 s7, s7, s8
	s_waitcnt lgkmcnt(0)
	s_cmp_eq_u64 s[4:5], 0
	s_mul_hi_u32 s7, s21, s7
	s_cbranch_scc1 .LBB15_6
; %bb.4:
	s_load_b32 s15, s[4:5], 0x0
	s_load_b64 s[4:5], s[22:23], 0x30
	s_waitcnt lgkmcnt(0)
	s_cmp_eq_u64 s[4:5], 0
	s_cbranch_scc1 .LBB15_7
.LBB15_5:
	s_load_b32 s16, s[4:5], 0x0
	s_branch .LBB15_8
.LBB15_6:
	s_clause 0x1
	s_load_b32 s15, s[22:23], 0x18
	s_load_b64 s[4:5], s[22:23], 0x30
	s_waitcnt lgkmcnt(0)
	s_cmp_eq_u64 s[4:5], 0
	s_cbranch_scc0 .LBB15_5
.LBB15_7:
	s_load_b32 s16, s[22:23], 0x28
.LBB15_8:
	s_mul_i32 s4, s7, s6
	s_add_i32 s5, s7, 1
	s_sub_i32 s4, s21, s4
	v_and_b32_e32 v10, 15, v41
	s_sub_i32 s8, s4, s6
	s_cmp_ge_u32 s4, s6
	s_cselect_b32 s5, s5, s7
	s_cselect_b32 s4, s8, s4
	s_add_i32 s7, s5, 1
	s_cmp_ge_u32 s4, s6
	s_cselect_b32 s12, s7, s5
	s_delay_alu instid0(SALU_CYCLE_1) | instskip(NEXT) | instid1(SALU_CYCLE_1)
	s_mul_i32 s14, s12, s6
	s_sub_i32 s4, s21, s14
	s_delay_alu instid0(SALU_CYCLE_1) | instskip(NEXT) | instid1(VALU_DEP_1)
	v_lshl_or_b32 v0, s4, 4, v10
	v_cmp_gt_u32_e32 vcc_lo, s0, v0
	s_and_saveexec_b32 s0, vcc_lo
	s_cbranch_execz .LBB15_55
; %bb.9:
	v_lshrrev_b32_e32 v1, 2, v41
	s_clause 0x1
	s_load_b128 s[8:11], s[22:23], 0x48
	s_load_b128 s[4:7], s[22:23], 0x0
	s_waitcnt lgkmcnt(0)
	s_lshl_b32 s11, s12, 6
	s_load_b64 s[12:13], s[22:23], 0x10
	v_dual_mov_b32 v4, 0 :: v_dual_and_b32 v11, 0xfc, v1
	v_mov_b32_e32 v5, 0
	s_delay_alu instid0(VALU_DEP_2) | instskip(NEXT) | instid1(VALU_DEP_1)
	v_add_nc_u32_e32 v9, s11, v11
	v_add_nc_u32_e32 v12, 4, v9
	v_mad_u64_u32 v[1:2], null, v0, s2, v[9:10]
	s_bitcmp1_b32 s10, 0
	s_delay_alu instid0(VALU_DEP_2)
	v_sub_nc_u32_e64 v13, v12, s1 clamp
	s_cselect_b32 vcc_lo, -1, 0
	s_cmp_lg_u64 s[6:7], 0
	s_mul_i32 s24, s24, s9
	s_cselect_b32 s10, -1, 0
	v_sub_nc_u32_e32 v8, v9, v13
	v_sub_nc_u32_e32 v6, v1, v13
	s_cmp_eq_u64 s[6:7], 0
	s_cbranch_scc1 .LBB15_11
; %bb.10:
	s_delay_alu instid0(VALU_DEP_2) | instskip(NEXT) | instid1(VALU_DEP_1)
	v_mad_u64_u32 v[1:2], null, v8, s2, v[0:1]
	v_dual_mov_b32 v2, 0 :: v_dual_cndmask_b32 v1, v1, v6
	s_delay_alu instid0(VALU_DEP_1) | instskip(NEXT) | instid1(VALU_DEP_1)
	v_add_nc_u32_e32 v1, s24, v1
	v_lshlrev_b64 v[1:2], 2, v[1:2]
	s_delay_alu instid0(VALU_DEP_1) | instskip(NEXT) | instid1(VALU_DEP_1)
	v_add_co_u32 v1, s0, s6, v1
	v_add_co_ci_u32_e64 v2, s0, s7, v2, s0
	global_load_b32 v5, v[1:2], off
.LBB15_11:
	s_load_b32 s0, s[22:23], 0x50
	v_mad_u64_u32 v[1:2], null, v0, s3, v[9:10]
	s_xor_b32 s17, vcc_lo, -1
	s_delay_alu instid0(VALU_DEP_1)
	v_sub_nc_u32_e32 v7, v1, v13
	s_waitcnt lgkmcnt(0)
	s_bitcmp1_b32 s0, 8
	s_cselect_b32 s0, -1, 0
	s_cmp_lg_u64 s[12:13], 0
	s_cselect_b32 s9, -1, 0
	s_cmp_eq_u64 s[12:13], 0
	s_cbranch_scc1 .LBB15_13
; %bb.12:
	v_mad_u64_u32 v[1:2], null, v8, s3, v[0:1]
	s_delay_alu instid0(VALU_DEP_1) | instskip(NEXT) | instid1(VALU_DEP_1)
	v_cndmask_b32_e64 v1, v1, v7, s0
	v_dual_mov_b32 v2, 0 :: v_dual_add_nc_u32 v1, s24, v1
	s_delay_alu instid0(VALU_DEP_1) | instskip(NEXT) | instid1(VALU_DEP_1)
	v_lshlrev_b64 v[1:2], 2, v[1:2]
	v_add_co_u32 v1, vcc_lo, s12, v1
	s_delay_alu instid0(VALU_DEP_2)
	v_add_co_ci_u32_e32 v2, vcc_lo, s13, v2, vcc_lo
	global_load_b32 v4, v[1:2], off
.LBB15_13:
	v_cndmask_b32_e64 v16, 0, 1, s17
	s_and_not1_b32 vcc_lo, exec_lo, s17
	s_cbranch_vccnz .LBB15_15
; %bb.14:
	v_mul_lo_u32 v1, s2, v8
	s_delay_alu instid0(VALU_DEP_1)
	v_add3_u32 v1, v1, s2, v0
	s_xor_b32 s0, s0, -1
	s_cbranch_execz .LBB15_16
	s_branch .LBB15_17
.LBB15_15:
                                        ; implicit-def: $vgpr1
	s_xor_b32 s0, s0, -1
.LBB15_16:
	v_add_nc_u32_e32 v1, 1, v6
.LBB15_17:
	v_cndmask_b32_e64 v17, 0, 1, s0
	s_and_not1_b32 vcc_lo, exec_lo, s0
	s_cbranch_vccnz .LBB15_19
; %bb.18:
	v_mul_lo_u32 v2, s3, v8
	s_delay_alu instid0(VALU_DEP_1)
	v_add3_u32 v2, v2, s3, v0
	s_cbranch_execz .LBB15_20
	s_branch .LBB15_21
.LBB15_19:
                                        ; implicit-def: $vgpr2
.LBB15_20:
	v_add_nc_u32_e32 v2, 1, v7
.LBB15_21:
	v_cndmask_b32_e64 v18, 0, 1, s10
	v_dual_mov_b32 v15, 0 :: v_dual_mov_b32 v14, 0
	s_and_not1_b32 vcc_lo, exec_lo, s10
	s_cbranch_vccnz .LBB15_23
; %bb.22:
	v_dual_mov_b32 v20, 0 :: v_dual_add_nc_u32 v19, s24, v1
	s_delay_alu instid0(VALU_DEP_1) | instskip(NEXT) | instid1(VALU_DEP_1)
	v_lshlrev_b64 v[19:20], 2, v[19:20]
	v_add_co_u32 v19, vcc_lo, s6, v19
	s_delay_alu instid0(VALU_DEP_2)
	v_add_co_ci_u32_e32 v20, vcc_lo, s7, v20, vcc_lo
	global_load_b32 v14, v[19:20], off
.LBB15_23:
	v_cndmask_b32_e64 v19, 0, 1, s9
	s_and_not1_b32 vcc_lo, exec_lo, s9
	s_cbranch_vccnz .LBB15_25
; %bb.24:
	v_dual_mov_b32 v2, 0 :: v_dual_add_nc_u32 v1, s24, v2
	s_delay_alu instid0(VALU_DEP_1) | instskip(NEXT) | instid1(VALU_DEP_1)
	v_lshlrev_b64 v[1:2], 2, v[1:2]
	v_add_co_u32 v1, vcc_lo, s12, v1
	s_delay_alu instid0(VALU_DEP_2)
	v_add_co_ci_u32_e32 v2, vcc_lo, s13, v2, vcc_lo
	global_load_b32 v15, v[1:2], off
.LBB15_25:
	v_cmp_ne_u32_e32 vcc_lo, 1, v16
	v_add_nc_u32_e32 v20, 2, v8
	s_cbranch_vccnz .LBB15_27
; %bb.26:
	s_delay_alu instid0(VALU_DEP_1)
	v_mad_u64_u32 v[1:2], null, v20, s2, v[0:1]
	s_cbranch_execz .LBB15_28
	s_branch .LBB15_29
.LBB15_27:
                                        ; implicit-def: $vgpr1
.LBB15_28:
	v_add_nc_u32_e32 v1, 2, v6
.LBB15_29:
	v_cmp_ne_u32_e32 vcc_lo, 1, v17
	s_cbranch_vccnz .LBB15_31
; %bb.30:
	s_delay_alu instid0(VALU_DEP_2)
	v_mad_u64_u32 v[2:3], null, v20, s3, v[0:1]
	s_cbranch_execz .LBB15_32
	s_branch .LBB15_33
.LBB15_31:
                                        ; implicit-def: $vgpr2
.LBB15_32:
	v_add_nc_u32_e32 v2, 2, v7
.LBB15_33:
	v_cmp_ne_u32_e32 vcc_lo, 1, v18
	v_dual_mov_b32 v21, 0 :: v_dual_mov_b32 v20, 0
	s_cbranch_vccnz .LBB15_35
; %bb.34:
	v_dual_mov_b32 v23, 0 :: v_dual_add_nc_u32 v22, s24, v1
	s_delay_alu instid0(VALU_DEP_1) | instskip(NEXT) | instid1(VALU_DEP_1)
	v_lshlrev_b64 v[22:23], 2, v[22:23]
	v_add_co_u32 v22, vcc_lo, s6, v22
	s_delay_alu instid0(VALU_DEP_2)
	v_add_co_ci_u32_e32 v23, vcc_lo, s7, v23, vcc_lo
	global_load_b32 v20, v[22:23], off
.LBB15_35:
	v_cmp_ne_u32_e32 vcc_lo, 1, v19
	s_cbranch_vccnz .LBB15_37
; %bb.36:
	v_dual_mov_b32 v2, 0 :: v_dual_add_nc_u32 v1, s24, v2
	s_delay_alu instid0(VALU_DEP_1) | instskip(NEXT) | instid1(VALU_DEP_1)
	v_lshlrev_b64 v[1:2], 2, v[1:2]
	v_add_co_u32 v1, vcc_lo, s12, v1
	s_delay_alu instid0(VALU_DEP_2)
	v_add_co_ci_u32_e32 v2, vcc_lo, s13, v2, vcc_lo
	global_load_b32 v21, v[1:2], off
.LBB15_37:
	v_cmp_ne_u32_e32 vcc_lo, 1, v16
	v_add_nc_u32_e32 v8, 3, v8
	s_cbranch_vccnz .LBB15_39
; %bb.38:
	s_delay_alu instid0(VALU_DEP_1)
	v_mad_u64_u32 v[1:2], null, v8, s2, v[0:1]
	s_cbranch_execz .LBB15_40
	s_branch .LBB15_41
.LBB15_39:
                                        ; implicit-def: $vgpr1
.LBB15_40:
	v_add_nc_u32_e32 v1, 3, v6
.LBB15_41:
	v_cmp_ne_u32_e32 vcc_lo, 1, v17
	s_cbranch_vccnz .LBB15_43
; %bb.42:
	s_delay_alu instid0(VALU_DEP_2)
	v_mad_u64_u32 v[2:3], null, v8, s3, v[0:1]
	s_cbranch_execz .LBB15_44
	s_branch .LBB15_45
.LBB15_43:
                                        ; implicit-def: $vgpr2
.LBB15_44:
	v_add_nc_u32_e32 v2, 3, v7
.LBB15_45:
	v_cmp_ne_u32_e32 vcc_lo, 1, v18
	v_dual_mov_b32 v6, 0 :: v_dual_mov_b32 v3, 0
	s_cbranch_vccnz .LBB15_47
; %bb.46:
	v_dual_mov_b32 v8, 0 :: v_dual_add_nc_u32 v7, s24, v1
	s_delay_alu instid0(VALU_DEP_1) | instskip(NEXT) | instid1(VALU_DEP_1)
	v_lshlrev_b64 v[7:8], 2, v[7:8]
	v_add_co_u32 v7, vcc_lo, s6, v7
	s_delay_alu instid0(VALU_DEP_2)
	v_add_co_ci_u32_e32 v8, vcc_lo, s7, v8, vcc_lo
	global_load_b32 v3, v[7:8], off
.LBB15_47:
	v_cmp_ne_u32_e32 vcc_lo, 1, v19
	s_cbranch_vccnz .LBB15_49
; %bb.48:
	v_dual_mov_b32 v2, 0 :: v_dual_add_nc_u32 v1, s24, v2
	s_delay_alu instid0(VALU_DEP_1) | instskip(NEXT) | instid1(VALU_DEP_1)
	v_lshlrev_b64 v[1:2], 2, v[1:2]
	v_add_co_u32 v1, vcc_lo, s12, v1
	s_delay_alu instid0(VALU_DEP_2)
	v_add_co_ci_u32_e32 v2, vcc_lo, s13, v2, vcc_lo
	global_load_b32 v6, v[1:2], off
.LBB15_49:
	s_waitcnt vmcnt(0)
	v_dual_mul_f32 v16, s16, v4 :: v_dual_mul_f32 v1, s16, v15
	v_mul_f32_e32 v4, s16, v21
	v_mul_f32_e32 v8, s16, v6
	s_mov_b32 s0, exec_lo
	s_delay_alu instid0(VALU_DEP_3) | instskip(NEXT) | instid1(VALU_DEP_3)
	v_dual_fmac_f32 v16, s15, v5 :: v_dual_fmac_f32 v1, s15, v14
	v_fmac_f32_e32 v4, s15, v20
	s_delay_alu instid0(VALU_DEP_3)
	v_fmac_f32_e32 v8, s15, v3
	v_cmpx_ge_u32_e64 s1, v12
	s_xor_b32 s0, exec_lo, s0
	s_cbranch_execz .LBB15_51
; %bb.50:
	v_mul_lo_u32 v0, v0, s8
	s_delay_alu instid0(VALU_DEP_1) | instskip(NEXT) | instid1(VALU_DEP_1)
	v_add3_u32 v0, v9, s24, v0
	v_sub_nc_u32_e32 v2, v0, v13
	v_mov_b32_e32 v3, 0
                                        ; implicit-def: $vgpr13
	s_delay_alu instid0(VALU_DEP_2) | instskip(NEXT) | instid1(VALU_DEP_2)
	v_add_nc_u32_e32 v5, 1, v2
	v_lshlrev_b64 v[11:12], 2, v[2:3]
	v_add_nc_u32_e32 v9, 2, v2
	v_add_nc_u32_e32 v2, 3, v2
	v_mov_b32_e32 v6, v3
	v_mov_b32_e32 v10, v3
	v_add_co_u32 v11, vcc_lo, s4, v11
	s_delay_alu instid0(VALU_DEP_3) | instskip(NEXT) | instid1(VALU_DEP_3)
	v_lshlrev_b64 v[5:6], 2, v[5:6]
	v_lshlrev_b64 v[9:10], 2, v[9:10]
	v_add_co_ci_u32_e32 v12, vcc_lo, s5, v12, vcc_lo
	v_lshlrev_b64 v[2:3], 2, v[2:3]
	s_delay_alu instid0(VALU_DEP_4)
	v_add_co_u32 v5, vcc_lo, s4, v5
	v_add_co_ci_u32_e32 v6, vcc_lo, s5, v6, vcc_lo
	v_add_co_u32 v9, vcc_lo, s4, v9
	v_add_co_ci_u32_e32 v10, vcc_lo, s5, v10, vcc_lo
	;; [unrolled: 2-line block ×3, first 2 shown]
	s_clause 0x3
	global_store_b32 v[11:12], v16, off
	global_store_b32 v[5:6], v1, off
	;; [unrolled: 1-line block ×4, first 2 shown]
                                        ; implicit-def: $vgpr0_vgpr1_vgpr2_vgpr3
                                        ; implicit-def: $vgpr2_vgpr3_vgpr4_vgpr5
                                        ; implicit-def: $vgpr10
                                        ; implicit-def: $vgpr11
                                        ; implicit-def: $vgpr9
                                        ; implicit-def: $vgpr12
                                        ; implicit-def: $vgpr16
                                        ; implicit-def: $vgpr5_vgpr6_vgpr7_vgpr8
.LBB15_51:
	s_and_not1_saveexec_b32 s0, s0
	s_cbranch_execz .LBB15_55
; %bb.52:
	v_cmp_gt_u32_e32 vcc_lo, 4, v13
	s_and_b32 exec_lo, exec_lo, vcc_lo
	s_cbranch_execz .LBB15_55
; %bb.53:
	v_lshl_or_b32 v0, s21, 4, v10
	s_lshl_b32 s0, s14, 4
	v_min_u32_e32 v2, s1, v12
	s_add_i32 s11, s11, s24
	s_mov_b32 s1, 0
	v_subrev_nc_u32_e32 v0, s0, v0
	s_delay_alu instid0(VALU_DEP_1) | instskip(SKIP_1) | instid1(VALU_DEP_1)
	v_mul_lo_u32 v3, s8, v0
	v_sub_nc_u32_e32 v0, v9, v2
	v_add_nc_u32_e32 v0, 3, v0
	s_delay_alu instid0(VALU_DEP_3)
	v_add3_u32 v2, s11, v3, v11
	v_mov_b32_e32 v3, 0
	.p2align	6
.LBB15_54:                              ; =>This Inner Loop Header: Depth=1
	s_delay_alu instid0(VALU_DEP_3) | instskip(NEXT) | instid1(VALU_DEP_2)
	v_add_nc_u32_e32 v0, 1, v0
	v_lshlrev_b64 v[5:6], 2, v[2:3]
	v_add_nc_u32_e32 v2, 1, v2
	s_delay_alu instid0(VALU_DEP_3) | instskip(SKIP_3) | instid1(VALU_DEP_2)
	v_cmp_eq_u32_e32 vcc_lo, 1, v0
	v_cndmask_b32_e32 v7, v16, v1, vcc_lo
	v_cmp_eq_u32_e64 s0, 2, v0
	v_cmp_lt_u32_e32 vcc_lo, 2, v0
	v_cndmask_b32_e64 v7, v7, v4, s0
	v_add_co_u32 v5, s0, s4, v5
	s_delay_alu instid0(VALU_DEP_1) | instskip(SKIP_2) | instid1(VALU_DEP_1)
	v_add_co_ci_u32_e64 v6, s0, s5, v6, s0
	v_cmp_eq_u32_e64 s0, 3, v0
	s_or_b32 s1, vcc_lo, s1
	v_cndmask_b32_e64 v7, v7, v8, s0
	global_store_b32 v[5:6], v7, off
	s_and_not1_b32 exec_lo, exec_lo, s1
	s_cbranch_execnz .LBB15_54
.LBB15_55:
	s_endpgm
	.section	.rodata,"a",@progbits
	.p2align	6, 0x0
	.amdhsa_kernel Transform_S_S_001_16_16_VW_4
		.amdhsa_group_segment_fixed_size 0
		.amdhsa_private_segment_fixed_size 64
		.amdhsa_kernarg_size 344
		.amdhsa_user_sgpr_count 14
		.amdhsa_user_sgpr_dispatch_ptr 0
		.amdhsa_user_sgpr_queue_ptr 0
		.amdhsa_user_sgpr_kernarg_segment_ptr 1
		.amdhsa_user_sgpr_dispatch_id 0
		.amdhsa_user_sgpr_private_segment_size 0
		.amdhsa_wavefront_size32 1
		.amdhsa_uses_dynamic_stack 0
		.amdhsa_enable_private_segment 1
		.amdhsa_system_sgpr_workgroup_id_x 1
		.amdhsa_system_sgpr_workgroup_id_y 0
		.amdhsa_system_sgpr_workgroup_id_z 1
		.amdhsa_system_sgpr_workgroup_info 0
		.amdhsa_system_vgpr_workitem_id 0
		.amdhsa_next_free_vgpr 42
		.amdhsa_next_free_sgpr 34
		.amdhsa_reserve_vcc 1
		.amdhsa_float_round_mode_32 0
		.amdhsa_float_round_mode_16_64 0
		.amdhsa_float_denorm_mode_32 3
		.amdhsa_float_denorm_mode_16_64 3
		.amdhsa_dx10_clamp 1
		.amdhsa_ieee_mode 1
		.amdhsa_fp16_overflow 0
		.amdhsa_workgroup_processor_mode 1
		.amdhsa_memory_ordered 1
		.amdhsa_forward_progress 0
		.amdhsa_shared_vgpr_count 0
		.amdhsa_exception_fp_ieee_invalid_op 0
		.amdhsa_exception_fp_denorm_src 0
		.amdhsa_exception_fp_ieee_div_zero 0
		.amdhsa_exception_fp_ieee_overflow 0
		.amdhsa_exception_fp_ieee_underflow 0
		.amdhsa_exception_fp_ieee_inexact 0
		.amdhsa_exception_int_div_zero 0
	.end_amdhsa_kernel
	.text
.Lfunc_end15:
	.size	Transform_S_S_001_16_16_VW_4, .Lfunc_end15-Transform_S_S_001_16_16_VW_4
                                        ; -- End function
	.section	.AMDGPU.csdata,"",@progbits
; Kernel info:
; codeLenInByte = 1760
; NumSgprs: 36
; NumVgprs: 42
; ScratchSize: 64
; MemoryBound: 0
; FloatMode: 240
; IeeeMode: 1
; LDSByteSize: 0 bytes/workgroup (compile time only)
; SGPRBlocks: 4
; VGPRBlocks: 5
; NumSGPRsForWavesPerEU: 36
; NumVGPRsForWavesPerEU: 42
; Occupancy: 16
; WaveLimiterHint : 1
; COMPUTE_PGM_RSRC2:SCRATCH_EN: 1
; COMPUTE_PGM_RSRC2:USER_SGPR: 14
; COMPUTE_PGM_RSRC2:TRAP_HANDLER: 0
; COMPUTE_PGM_RSRC2:TGID_X_EN: 1
; COMPUTE_PGM_RSRC2:TGID_Y_EN: 0
; COMPUTE_PGM_RSRC2:TGID_Z_EN: 1
; COMPUTE_PGM_RSRC2:TIDIG_COMP_CNT: 0
	.text
	.protected	Transform_S_S_000_16_16_VW_1 ; -- Begin function Transform_S_S_000_16_16_VW_1
	.globl	Transform_S_S_000_16_16_VW_1
	.p2align	8
	.type	Transform_S_S_000_16_16_VW_1,@function
Transform_S_S_000_16_16_VW_1:           ; @Transform_S_S_000_16_16_VW_1
; %bb.0:
	s_mov_b64 s[22:23], s[0:1]
	s_load_b32 s0, s[0:1], 0x64
	v_mov_b32_e32 v41, v0
	s_mov_b32 s21, s15
	s_mov_b32 s24, s14
	;; [unrolled: 1-line block ×3, first 2 shown]
	s_waitcnt lgkmcnt(0)
	v_cmp_eq_u16_e64 s0, 0x100, s0
	s_delay_alu instid0(VALU_DEP_1)
	s_and_b32 vcc_lo, exec_lo, s0
	s_mov_b32 s0, -1
	s_cbranch_vccnz .LBB16_2
; %bb.1:
	s_add_u32 s8, s22, 0x58
	s_addc_u32 s9, s23, 0
	s_getpc_b64 s[0:1]
	s_add_u32 s0, s0, __PRETTY_FUNCTION__._ZN10amd_detail9transformIffLb0ELb0ELb0ELj16ELj16ELj1EEEvPT_PKS1_S4_T0_PKS5_S5_S7_jjjjjjbb@rel32@lo+4
	s_addc_u32 s1, s1, __PRETTY_FUNCTION__._ZN10amd_detail9transformIffLb0ELb0ELb0ELj16ELj16ELj1EEEvPT_PKS1_S4_T0_PKS5_S5_S7_jjjjjjbb@rel32@hi+12
	s_delay_alu instid0(SALU_CYCLE_1) | instskip(SKIP_3) | instid1(SALU_CYCLE_1)
	v_dual_mov_b32 v0, s0 :: v_dual_mov_b32 v1, s1
	s_getpc_b64 s[2:3]
	s_add_u32 s2, s2, __assert_fail@rel32@lo+4
	s_addc_u32 s3, s3, __assert_fail@rel32@hi+12
	s_swappc_b64 s[30:31], s[2:3]
	; divergent unreachable
	s_mov_b32 s0, 0
.LBB16_2:
	s_delay_alu instid0(SALU_CYCLE_1)
	s_and_not1_b32 vcc_lo, exec_lo, s0
	s_cbranch_vccnz .LBB16_14
; %bb.3:
	s_load_b256 s[0:7], s[22:23], 0x38
	s_waitcnt lgkmcnt(0)
	s_and_b32 s7, s0, 15
	s_lshr_b32 s8, s0, 4
	s_cmp_lg_u32 s7, 0
	s_cselect_b32 s7, -1, 0
	s_delay_alu instid0(SALU_CYCLE_1) | instskip(SKIP_4) | instid1(VALU_DEP_1)
	s_cmp_lg_u32 s7, 0
	s_addc_u32 s10, s8, 0
	s_load_b64 s[8:9], s[22:23], 0x20
	v_cvt_f32_u32_e32 v0, s10
	s_sub_i32 s11, 0, s10
	v_rcp_iflag_f32_e32 v0, v0
	s_waitcnt_depctr 0xfff
	v_mul_f32_e32 v0, 0x4f7ffffe, v0
	s_delay_alu instid0(VALU_DEP_1) | instskip(NEXT) | instid1(VALU_DEP_1)
	v_cvt_u32_f32_e32 v0, v0
	v_readfirstlane_b32 s7, v0
	s_delay_alu instid0(VALU_DEP_1) | instskip(NEXT) | instid1(SALU_CYCLE_1)
	s_mul_i32 s11, s11, s7
	s_mul_hi_u32 s11, s7, s11
	s_delay_alu instid0(SALU_CYCLE_1)
	s_add_i32 s7, s7, s11
	s_waitcnt lgkmcnt(0)
	s_cmp_eq_u64 s[8:9], 0
	s_mul_hi_u32 s11, s24, s7
	s_cbranch_scc1 .LBB16_6
; %bb.4:
	s_load_b32 s7, s[8:9], 0x0
	s_load_b64 s[8:9], s[22:23], 0x30
	s_waitcnt lgkmcnt(0)
	s_cmp_eq_u64 s[8:9], 0
	s_cbranch_scc1 .LBB16_7
.LBB16_5:
	s_load_b32 s12, s[8:9], 0x0
	s_branch .LBB16_8
.LBB16_6:
	s_clause 0x1
	s_load_b32 s7, s[22:23], 0x18
	s_load_b64 s[8:9], s[22:23], 0x30
	s_waitcnt lgkmcnt(0)
	s_cmp_eq_u64 s[8:9], 0
	s_cbranch_scc0 .LBB16_5
.LBB16_7:
	s_load_b32 s12, s[22:23], 0x28
.LBB16_8:
	s_mul_i32 s8, s11, s10
	s_add_i32 s9, s11, 1
	s_sub_i32 s8, s24, s8
	v_and_b32_e32 v0, 15, v41
	s_sub_i32 s13, s8, s10
	s_cmp_ge_u32 s8, s10
	v_lshrrev_b32_e32 v1, 4, v41
	s_cselect_b32 s9, s9, s11
	s_cselect_b32 s8, s13, s8
	s_add_i32 s11, s9, 1
	s_cmp_ge_u32 s8, s10
	s_cselect_b32 s8, s11, s9
	s_delay_alu instid0(SALU_CYCLE_1) | instskip(SKIP_2) | instid1(SALU_CYCLE_1)
	s_mul_i32 s9, s8, s10
	v_lshl_add_u32 v1, s8, 4, v1
	s_sub_i32 s9, s24, s9
	v_lshl_or_b32 v0, s9, 4, v0
	s_delay_alu instid0(VALU_DEP_1) | instskip(NEXT) | instid1(VALU_DEP_3)
	v_cmp_gt_u32_e32 vcc_lo, s0, v0
	v_cmp_gt_u32_e64 s0, s1, v1
	s_delay_alu instid0(VALU_DEP_1) | instskip(NEXT) | instid1(SALU_CYCLE_1)
	s_and_b32 s0, vcc_lo, s0
	s_and_saveexec_b32 s1, s0
	s_cbranch_execz .LBB16_14
; %bb.9:
	s_clause 0x1
	s_load_b128 s[8:11], s[22:23], 0x0
	s_load_b64 s[0:1], s[22:23], 0x10
	v_dual_mov_b32 v3, 0 :: v_dual_mov_b32 v2, 0
	s_mul_i32 s21, s21, s5
	s_waitcnt lgkmcnt(0)
	s_cmp_eq_u64 s[10:11], 0
	s_cbranch_scc1 .LBB16_11
; %bb.10:
	s_bitcmp1_b32 s6, 0
	v_mov_b32_e32 v5, 0
	s_cselect_b32 vcc_lo, -1, 0
	v_cndmask_b32_e32 v2, v1, v0, vcc_lo
	v_cndmask_b32_e32 v4, v0, v1, vcc_lo
	s_delay_alu instid0(VALU_DEP_2) | instskip(NEXT) | instid1(VALU_DEP_1)
	v_mul_lo_u32 v2, v2, s2
	v_add3_u32 v4, v4, s21, v2
	s_delay_alu instid0(VALU_DEP_1) | instskip(NEXT) | instid1(VALU_DEP_1)
	v_lshlrev_b64 v[4:5], 2, v[4:5]
	v_add_co_u32 v4, vcc_lo, s10, v4
	s_delay_alu instid0(VALU_DEP_2)
	v_add_co_ci_u32_e32 v5, vcc_lo, s11, v5, vcc_lo
	global_load_b32 v2, v[4:5], off
.LBB16_11:
	s_cmp_eq_u64 s[0:1], 0
	s_cbranch_scc1 .LBB16_13
; %bb.12:
	s_load_b32 s2, s[22:23], 0x50
	v_mov_b32_e32 v4, 0
	s_waitcnt lgkmcnt(0)
	s_bitcmp1_b32 s2, 8
	s_cselect_b32 vcc_lo, -1, 0
	v_cndmask_b32_e32 v3, v1, v0, vcc_lo
	v_cndmask_b32_e32 v5, v0, v1, vcc_lo
	s_delay_alu instid0(VALU_DEP_2) | instskip(NEXT) | instid1(VALU_DEP_1)
	v_mul_lo_u32 v3, v3, s3
	v_add3_u32 v3, v5, s21, v3
	s_delay_alu instid0(VALU_DEP_1) | instskip(NEXT) | instid1(VALU_DEP_1)
	v_lshlrev_b64 v[3:4], 2, v[3:4]
	v_add_co_u32 v3, vcc_lo, s0, v3
	s_delay_alu instid0(VALU_DEP_2)
	v_add_co_ci_u32_e32 v4, vcc_lo, s1, v4, vcc_lo
	global_load_b32 v3, v[3:4], off
.LBB16_13:
	v_mul_lo_u32 v4, v1, s4
	v_mov_b32_e32 v1, 0
	s_waitcnt vmcnt(0)
	v_mul_f32_e32 v3, s12, v3
	s_delay_alu instid0(VALU_DEP_1) | instskip(NEXT) | instid1(VALU_DEP_4)
	v_fmac_f32_e32 v3, s7, v2
	v_add3_u32 v0, v0, s21, v4
	s_delay_alu instid0(VALU_DEP_1) | instskip(NEXT) | instid1(VALU_DEP_1)
	v_lshlrev_b64 v[0:1], 2, v[0:1]
	v_add_co_u32 v0, vcc_lo, s8, v0
	s_delay_alu instid0(VALU_DEP_2)
	v_add_co_ci_u32_e32 v1, vcc_lo, s9, v1, vcc_lo
	global_store_b32 v[0:1], v3, off
.LBB16_14:
	s_endpgm
	.section	.rodata,"a",@progbits
	.p2align	6, 0x0
	.amdhsa_kernel Transform_S_S_000_16_16_VW_1
		.amdhsa_group_segment_fixed_size 0
		.amdhsa_private_segment_fixed_size 64
		.amdhsa_kernarg_size 344
		.amdhsa_user_sgpr_count 14
		.amdhsa_user_sgpr_dispatch_ptr 0
		.amdhsa_user_sgpr_queue_ptr 0
		.amdhsa_user_sgpr_kernarg_segment_ptr 1
		.amdhsa_user_sgpr_dispatch_id 0
		.amdhsa_user_sgpr_private_segment_size 0
		.amdhsa_wavefront_size32 1
		.amdhsa_uses_dynamic_stack 0
		.amdhsa_enable_private_segment 1
		.amdhsa_system_sgpr_workgroup_id_x 1
		.amdhsa_system_sgpr_workgroup_id_y 0
		.amdhsa_system_sgpr_workgroup_id_z 1
		.amdhsa_system_sgpr_workgroup_info 0
		.amdhsa_system_vgpr_workitem_id 0
		.amdhsa_next_free_vgpr 42
		.amdhsa_next_free_sgpr 34
		.amdhsa_reserve_vcc 1
		.amdhsa_float_round_mode_32 0
		.amdhsa_float_round_mode_16_64 0
		.amdhsa_float_denorm_mode_32 3
		.amdhsa_float_denorm_mode_16_64 3
		.amdhsa_dx10_clamp 1
		.amdhsa_ieee_mode 1
		.amdhsa_fp16_overflow 0
		.amdhsa_workgroup_processor_mode 1
		.amdhsa_memory_ordered 1
		.amdhsa_forward_progress 0
		.amdhsa_shared_vgpr_count 0
		.amdhsa_exception_fp_ieee_invalid_op 0
		.amdhsa_exception_fp_denorm_src 0
		.amdhsa_exception_fp_ieee_div_zero 0
		.amdhsa_exception_fp_ieee_overflow 0
		.amdhsa_exception_fp_ieee_underflow 0
		.amdhsa_exception_fp_ieee_inexact 0
		.amdhsa_exception_int_div_zero 0
	.end_amdhsa_kernel
	.text
.Lfunc_end16:
	.size	Transform_S_S_000_16_16_VW_1, .Lfunc_end16-Transform_S_S_000_16_16_VW_1
                                        ; -- End function
	.section	.AMDGPU.csdata,"",@progbits
; Kernel info:
; codeLenInByte = 744
; NumSgprs: 36
; NumVgprs: 42
; ScratchSize: 64
; MemoryBound: 0
; FloatMode: 240
; IeeeMode: 1
; LDSByteSize: 0 bytes/workgroup (compile time only)
; SGPRBlocks: 4
; VGPRBlocks: 5
; NumSGPRsForWavesPerEU: 36
; NumVGPRsForWavesPerEU: 42
; Occupancy: 16
; WaveLimiterHint : 1
; COMPUTE_PGM_RSRC2:SCRATCH_EN: 1
; COMPUTE_PGM_RSRC2:USER_SGPR: 14
; COMPUTE_PGM_RSRC2:TRAP_HANDLER: 0
; COMPUTE_PGM_RSRC2:TGID_X_EN: 1
; COMPUTE_PGM_RSRC2:TGID_Y_EN: 0
; COMPUTE_PGM_RSRC2:TGID_Z_EN: 1
; COMPUTE_PGM_RSRC2:TIDIG_COMP_CNT: 0
	.text
	.protected	Transform_S_S_000_16_16_VW_4 ; -- Begin function Transform_S_S_000_16_16_VW_4
	.globl	Transform_S_S_000_16_16_VW_4
	.p2align	8
	.type	Transform_S_S_000_16_16_VW_4,@function
Transform_S_S_000_16_16_VW_4:           ; @Transform_S_S_000_16_16_VW_4
; %bb.0:
	s_mov_b64 s[22:23], s[0:1]
	s_load_b32 s0, s[0:1], 0x64
	v_mov_b32_e32 v41, v0
	s_mov_b32 s24, s15
	s_mov_b32 s21, s14
	s_mov_b32 s32, 0
	s_waitcnt lgkmcnt(0)
	v_cmp_eq_u16_e64 s0, 0x100, s0
	s_delay_alu instid0(VALU_DEP_1)
	s_and_b32 vcc_lo, exec_lo, s0
	s_mov_b32 s0, -1
	s_cbranch_vccnz .LBB17_2
; %bb.1:
	s_add_u32 s8, s22, 0x58
	s_addc_u32 s9, s23, 0
	s_getpc_b64 s[0:1]
	s_add_u32 s0, s0, __PRETTY_FUNCTION__._ZN10amd_detail9transformIffLb0ELb0ELb0ELj16ELj16ELj4EEEvPT_PKS1_S4_T0_PKS5_S5_S7_jjjjjjbb@rel32@lo+4
	s_addc_u32 s1, s1, __PRETTY_FUNCTION__._ZN10amd_detail9transformIffLb0ELb0ELb0ELj16ELj16ELj4EEEvPT_PKS1_S4_T0_PKS5_S5_S7_jjjjjjbb@rel32@hi+12
	s_delay_alu instid0(SALU_CYCLE_1) | instskip(SKIP_3) | instid1(SALU_CYCLE_1)
	v_dual_mov_b32 v0, s0 :: v_dual_mov_b32 v1, s1
	s_getpc_b64 s[2:3]
	s_add_u32 s2, s2, __assert_fail@rel32@lo+4
	s_addc_u32 s3, s3, __assert_fail@rel32@hi+12
	s_swappc_b64 s[30:31], s[2:3]
	; divergent unreachable
	s_mov_b32 s0, 0
.LBB17_2:
	s_delay_alu instid0(SALU_CYCLE_1)
	s_and_not1_b32 vcc_lo, exec_lo, s0
	s_cbranch_vccnz .LBB17_55
; %bb.3:
	s_load_b256 s[4:11], s[22:23], 0x38
	s_waitcnt lgkmcnt(0)
	s_and_b32 s0, s4, 63
	s_lshr_b32 s1, s4, 6
	s_cmp_lg_u32 s0, 0
	s_cselect_b32 s0, -1, 0
	s_delay_alu instid0(SALU_CYCLE_1) | instskip(SKIP_4) | instid1(VALU_DEP_1)
	s_cmp_lg_u32 s0, 0
	s_addc_u32 s2, s1, 0
	s_load_b64 s[0:1], s[22:23], 0x20
	v_cvt_f32_u32_e32 v0, s2
	s_sub_i32 s11, 0, s2
	v_rcp_iflag_f32_e32 v0, v0
	s_waitcnt_depctr 0xfff
	v_mul_f32_e32 v0, 0x4f7ffffe, v0
	s_delay_alu instid0(VALU_DEP_1) | instskip(NEXT) | instid1(VALU_DEP_1)
	v_cvt_u32_f32_e32 v0, v0
	v_readfirstlane_b32 s3, v0
	s_delay_alu instid0(VALU_DEP_1) | instskip(NEXT) | instid1(SALU_CYCLE_1)
	s_mul_i32 s11, s11, s3
	s_mul_hi_u32 s11, s3, s11
	s_delay_alu instid0(SALU_CYCLE_1)
	s_add_i32 s3, s3, s11
	s_waitcnt lgkmcnt(0)
	s_cmp_eq_u64 s[0:1], 0
	s_mul_hi_u32 s3, s21, s3
	s_cbranch_scc1 .LBB17_6
; %bb.4:
	s_load_b32 s11, s[0:1], 0x0
	s_load_b64 s[0:1], s[22:23], 0x30
	s_waitcnt lgkmcnt(0)
	s_cmp_eq_u64 s[0:1], 0
	s_cbranch_scc1 .LBB17_7
.LBB17_5:
	s_load_b32 s16, s[0:1], 0x0
	s_branch .LBB17_8
.LBB17_6:
	s_clause 0x1
	s_load_b32 s11, s[22:23], 0x18
	s_load_b64 s[0:1], s[22:23], 0x30
	s_waitcnt lgkmcnt(0)
	s_cmp_eq_u64 s[0:1], 0
	s_cbranch_scc0 .LBB17_5
.LBB17_7:
	s_load_b32 s16, s[22:23], 0x28
.LBB17_8:
	s_mul_i32 s0, s3, s2
	s_add_i32 s1, s3, 1
	s_sub_i32 s0, s21, s0
	v_lshrrev_b32_e32 v0, 4, v41
	s_sub_i32 s12, s0, s2
	s_cmp_ge_u32 s0, s2
	s_cselect_b32 s1, s1, s3
	s_cselect_b32 s0, s12, s0
	s_add_i32 s3, s1, 1
	s_cmp_ge_u32 s0, s2
	s_mov_b32 s0, exec_lo
	s_cselect_b32 s1, s3, s1
	s_delay_alu instid0(SALU_CYCLE_1) | instskip(NEXT) | instid1(VALU_DEP_1)
	v_lshl_add_u32 v0, s1, 4, v0
	v_cmpx_gt_u32_e64 s5, v0
	s_cbranch_execz .LBB17_55
; %bb.9:
	v_dual_mov_b32 v8, 0 :: v_dual_lshlrev_b32 v1, 2, v41
	s_mul_i32 s1, s1, s2
	s_clause 0x1
	s_load_b128 s[12:15], s[22:23], 0x0
	s_load_b64 s[2:3], s[22:23], 0x10
	v_and_b32_e32 v9, 60, v1
	s_sub_i32 s0, s21, s1
	s_bitcmp1_b32 s10, 0
	v_mov_b32_e32 v11, 0
	s_cselect_b32 vcc_lo, -1, 0
	v_lshl_or_b32 v6, s0, 6, v9
	s_mul_i32 s24, s24, s9
	s_delay_alu instid0(VALU_DEP_1) | instskip(NEXT) | instid1(VALU_DEP_1)
	v_add_nc_u32_e32 v7, 4, v6
	v_sub_nc_u32_e64 v10, v7, s4 clamp
	s_waitcnt lgkmcnt(0)
	s_cmp_lg_u64 s[14:15], 0
	s_cselect_b32 s5, -1, 0
	s_delay_alu instid0(VALU_DEP_1) | instskip(SKIP_1) | instid1(VALU_DEP_1)
	v_sub_nc_u32_e32 v1, v6, v10
	s_cmp_eq_u64 s[14:15], 0
	v_mad_u64_u32 v[2:3], null, v0, s6, v[1:2]
	s_cbranch_scc1 .LBB17_11
; %bb.10:
	v_mad_u64_u32 v[3:4], null, v1, s6, v[0:1]
	s_delay_alu instid0(VALU_DEP_1) | instskip(NEXT) | instid1(VALU_DEP_1)
	v_dual_mov_b32 v4, 0 :: v_dual_cndmask_b32 v3, v2, v3
	v_add_nc_u32_e32 v3, s24, v3
	s_delay_alu instid0(VALU_DEP_1) | instskip(NEXT) | instid1(VALU_DEP_1)
	v_lshlrev_b64 v[3:4], 2, v[3:4]
	v_add_co_u32 v3, s0, s14, v3
	s_delay_alu instid0(VALU_DEP_1)
	v_add_co_ci_u32_e64 v4, s0, s15, v4, s0
	global_load_b32 v11, v[3:4], off
.LBB17_11:
	s_load_b32 s0, s[22:23], 0x50
	s_delay_alu instid0(VALU_DEP_1)
	v_mad_u64_u32 v[3:4], null, v0, s7, v[1:2]
	v_mul_lo_u32 v12, v1, s7
	s_xor_b32 s10, vcc_lo, -1
	s_waitcnt lgkmcnt(0)
	s_bitcmp1_b32 s0, 8
	s_cselect_b32 s0, -1, 0
	s_cmp_lg_u64 s[2:3], 0
	s_cselect_b32 s9, -1, 0
	s_cmp_eq_u64 s[2:3], 0
	s_cbranch_scc1 .LBB17_13
; %bb.12:
	v_dual_mov_b32 v5, 0 :: v_dual_add_nc_u32 v4, v12, v0
	s_delay_alu instid0(VALU_DEP_1) | instskip(NEXT) | instid1(VALU_DEP_1)
	v_cndmask_b32_e64 v4, v3, v4, s0
	v_add_nc_u32_e32 v4, s24, v4
	s_delay_alu instid0(VALU_DEP_1) | instskip(NEXT) | instid1(VALU_DEP_1)
	v_lshlrev_b64 v[4:5], 2, v[4:5]
	v_add_co_u32 v4, vcc_lo, s2, v4
	s_delay_alu instid0(VALU_DEP_2)
	v_add_co_ci_u32_e32 v5, vcc_lo, s3, v5, vcc_lo
	global_load_b32 v8, v[4:5], off
.LBB17_13:
	v_cndmask_b32_e64 v15, 0, 1, s10
	s_and_not1_b32 vcc_lo, exec_lo, s10
	s_cbranch_vccnz .LBB17_15
; %bb.14:
	v_add_nc_u32_e32 v4, 1, v2
	s_xor_b32 s0, s0, -1
	s_cbranch_execz .LBB17_16
	s_branch .LBB17_17
.LBB17_15:
                                        ; implicit-def: $vgpr4
	s_xor_b32 s0, s0, -1
.LBB17_16:
	v_mul_lo_u32 v4, s6, v1
	s_delay_alu instid0(VALU_DEP_1)
	v_add3_u32 v4, v4, s6, v0
.LBB17_17:
	v_cndmask_b32_e64 v16, 0, 1, s0
	s_and_not1_b32 vcc_lo, exec_lo, s0
	s_cbranch_vccnz .LBB17_19
; %bb.18:
	v_add_nc_u32_e32 v5, 1, v3
	s_cbranch_execz .LBB17_20
	s_branch .LBB17_21
.LBB17_19:
                                        ; implicit-def: $vgpr5
.LBB17_20:
	v_add3_u32 v5, v12, s7, v0
.LBB17_21:
	v_cndmask_b32_e64 v17, 0, 1, s5
	v_dual_mov_b32 v14, 0 :: v_dual_mov_b32 v13, 0
	s_and_not1_b32 vcc_lo, exec_lo, s5
	s_cbranch_vccnz .LBB17_23
; %bb.22:
	v_dual_mov_b32 v19, 0 :: v_dual_add_nc_u32 v18, s24, v4
	s_delay_alu instid0(VALU_DEP_1) | instskip(NEXT) | instid1(VALU_DEP_1)
	v_lshlrev_b64 v[18:19], 2, v[18:19]
	v_add_co_u32 v18, vcc_lo, s14, v18
	s_delay_alu instid0(VALU_DEP_2)
	v_add_co_ci_u32_e32 v19, vcc_lo, s15, v19, vcc_lo
	global_load_b32 v13, v[18:19], off
.LBB17_23:
	v_cndmask_b32_e64 v18, 0, 1, s9
	s_and_not1_b32 vcc_lo, exec_lo, s9
	s_cbranch_vccnz .LBB17_25
; %bb.24:
	v_dual_mov_b32 v5, 0 :: v_dual_add_nc_u32 v4, s24, v5
	s_delay_alu instid0(VALU_DEP_1) | instskip(NEXT) | instid1(VALU_DEP_1)
	v_lshlrev_b64 v[4:5], 2, v[4:5]
	v_add_co_u32 v4, vcc_lo, s2, v4
	s_delay_alu instid0(VALU_DEP_2)
	v_add_co_ci_u32_e32 v5, vcc_lo, s3, v5, vcc_lo
	global_load_b32 v14, v[4:5], off
.LBB17_25:
	v_cmp_ne_u32_e32 vcc_lo, 1, v15
	s_cbranch_vccnz .LBB17_27
; %bb.26:
	v_add_nc_u32_e32 v4, 2, v2
	s_cbranch_execz .LBB17_28
	s_branch .LBB17_29
.LBB17_27:
                                        ; implicit-def: $vgpr4
.LBB17_28:
	v_add_nc_u32_e32 v19, 2, v1
	s_delay_alu instid0(VALU_DEP_1)
	v_mad_u64_u32 v[4:5], null, v19, s6, v[0:1]
.LBB17_29:
	v_cmp_ne_u32_e32 vcc_lo, 1, v16
	s_cbranch_vccnz .LBB17_31
; %bb.30:
	v_add_nc_u32_e32 v5, 2, v3
	s_cbranch_execz .LBB17_32
	s_branch .LBB17_33
.LBB17_31:
                                        ; implicit-def: $vgpr5
.LBB17_32:
	s_lshl_b32 s0, s7, 1
	s_delay_alu instid0(SALU_CYCLE_1)
	v_add3_u32 v5, v12, s0, v0
.LBB17_33:
	v_cmp_ne_u32_e32 vcc_lo, 1, v17
	v_dual_mov_b32 v20, 0 :: v_dual_mov_b32 v19, 0
	s_cbranch_vccnz .LBB17_35
; %bb.34:
	v_dual_mov_b32 v22, 0 :: v_dual_add_nc_u32 v21, s24, v4
	s_delay_alu instid0(VALU_DEP_1) | instskip(NEXT) | instid1(VALU_DEP_1)
	v_lshlrev_b64 v[21:22], 2, v[21:22]
	v_add_co_u32 v21, vcc_lo, s14, v21
	s_delay_alu instid0(VALU_DEP_2)
	v_add_co_ci_u32_e32 v22, vcc_lo, s15, v22, vcc_lo
	global_load_b32 v19, v[21:22], off
.LBB17_35:
	v_cmp_ne_u32_e32 vcc_lo, 1, v18
	s_cbranch_vccnz .LBB17_37
; %bb.36:
	v_dual_mov_b32 v5, 0 :: v_dual_add_nc_u32 v4, s24, v5
	s_delay_alu instid0(VALU_DEP_1) | instskip(NEXT) | instid1(VALU_DEP_1)
	v_lshlrev_b64 v[4:5], 2, v[4:5]
	v_add_co_u32 v4, vcc_lo, s2, v4
	s_delay_alu instid0(VALU_DEP_2)
	v_add_co_ci_u32_e32 v5, vcc_lo, s3, v5, vcc_lo
	global_load_b32 v20, v[4:5], off
.LBB17_37:
	v_cmp_ne_u32_e32 vcc_lo, 1, v15
	s_cbranch_vccnz .LBB17_39
; %bb.38:
	v_add_nc_u32_e32 v4, 3, v2
	s_cbranch_execz .LBB17_40
	s_branch .LBB17_41
.LBB17_39:
                                        ; implicit-def: $vgpr4
.LBB17_40:
	v_add_nc_u32_e32 v1, 3, v1
	s_delay_alu instid0(VALU_DEP_1)
	v_mad_u64_u32 v[4:5], null, v1, s6, v[0:1]
.LBB17_41:
	v_cmp_ne_u32_e32 vcc_lo, 1, v16
	s_cbranch_vccnz .LBB17_43
; %bb.42:
	v_add_nc_u32_e32 v1, 3, v3
	s_cbranch_execz .LBB17_44
	s_branch .LBB17_45
.LBB17_43:
                                        ; implicit-def: $vgpr1
.LBB17_44:
	s_mul_i32 s0, s7, 3
	s_delay_alu instid0(SALU_CYCLE_1)
	v_add3_u32 v1, v12, s0, v0
.LBB17_45:
	v_cmp_ne_u32_e32 vcc_lo, 1, v17
	v_dual_mov_b32 v3, 0 :: v_dual_mov_b32 v2, 0
	s_cbranch_vccnz .LBB17_47
; %bb.46:
	v_dual_mov_b32 v5, 0 :: v_dual_add_nc_u32 v4, s24, v4
	s_delay_alu instid0(VALU_DEP_1) | instskip(NEXT) | instid1(VALU_DEP_1)
	v_lshlrev_b64 v[4:5], 2, v[4:5]
	v_add_co_u32 v4, vcc_lo, s14, v4
	s_delay_alu instid0(VALU_DEP_2)
	v_add_co_ci_u32_e32 v5, vcc_lo, s15, v5, vcc_lo
	global_load_b32 v2, v[4:5], off
.LBB17_47:
	v_cmp_ne_u32_e32 vcc_lo, 1, v18
	s_cbranch_vccnz .LBB17_49
; %bb.48:
	v_dual_mov_b32 v4, 0 :: v_dual_add_nc_u32 v3, s24, v1
	s_delay_alu instid0(VALU_DEP_1) | instskip(NEXT) | instid1(VALU_DEP_1)
	v_lshlrev_b64 v[3:4], 2, v[3:4]
	v_add_co_u32 v3, vcc_lo, s2, v3
	s_delay_alu instid0(VALU_DEP_2)
	v_add_co_ci_u32_e32 v4, vcc_lo, s3, v4, vcc_lo
	global_load_b32 v3, v[3:4], off
.LBB17_49:
	s_waitcnt vmcnt(0)
	v_dual_mul_f32 v12, s16, v8 :: v_dual_mul_f32 v1, s16, v14
	v_mul_f32_e32 v4, s16, v20
	v_mul_f32_e32 v8, s16, v3
	s_mov_b32 s0, exec_lo
	s_delay_alu instid0(VALU_DEP_3)
	v_dual_fmac_f32 v12, s11, v11 :: v_dual_fmac_f32 v1, s11, v13
	v_mul_lo_u32 v11, v0, s8
	v_fmac_f32_e32 v4, s11, v19
	v_fmac_f32_e32 v8, s11, v2
	v_cmpx_ge_u32_e64 s4, v7
	s_xor_b32 s0, exec_lo, s0
	s_cbranch_execz .LBB17_51
; %bb.50:
	v_dual_mov_b32 v3, 0 :: v_dual_add_nc_u32 v0, s24, v6
	s_delay_alu instid0(VALU_DEP_1) | instskip(NEXT) | instid1(VALU_DEP_1)
	v_sub_nc_u32_e32 v0, v0, v10
	v_add_nc_u32_e32 v2, v0, v11
	s_delay_alu instid0(VALU_DEP_3) | instskip(SKIP_1) | instid1(VALU_DEP_3)
	v_mov_b32_e32 v6, v3
	v_mov_b32_e32 v10, v3
                                        ; implicit-def: $vgpr11
	v_add_nc_u32_e32 v9, 2, v2
	v_add_nc_u32_e32 v5, 1, v2
	v_lshlrev_b64 v[13:14], 2, v[2:3]
	v_add_nc_u32_e32 v2, 3, v2
	s_delay_alu instid0(VALU_DEP_4) | instskip(NEXT) | instid1(VALU_DEP_4)
	v_lshlrev_b64 v[9:10], 2, v[9:10]
	v_lshlrev_b64 v[5:6], 2, v[5:6]
	s_delay_alu instid0(VALU_DEP_4) | instskip(SKIP_2) | instid1(VALU_DEP_4)
	v_add_co_u32 v13, vcc_lo, s12, v13
	v_add_co_ci_u32_e32 v14, vcc_lo, s13, v14, vcc_lo
	v_lshlrev_b64 v[2:3], 2, v[2:3]
	v_add_co_u32 v5, vcc_lo, s12, v5
	v_add_co_ci_u32_e32 v6, vcc_lo, s13, v6, vcc_lo
	v_add_co_u32 v9, vcc_lo, s12, v9
	v_add_co_ci_u32_e32 v10, vcc_lo, s13, v10, vcc_lo
	;; [unrolled: 2-line block ×3, first 2 shown]
	s_clause 0x3
	global_store_b32 v[13:14], v12, off
	global_store_b32 v[5:6], v1, off
	;; [unrolled: 1-line block ×4, first 2 shown]
                                        ; implicit-def: $vgpr0_vgpr1_vgpr2_vgpr3
                                        ; implicit-def: $vgpr2_vgpr3_vgpr4_vgpr5
                                        ; implicit-def: $vgpr10
                                        ; implicit-def: $vgpr12
                                        ; implicit-def: $vgpr9
                                        ; implicit-def: $vgpr5_vgpr6_vgpr7_vgpr8
.LBB17_51:
	s_and_not1_saveexec_b32 s0, s0
	s_cbranch_execz .LBB17_55
; %bb.52:
	v_cmp_gt_u32_e32 vcc_lo, 4, v10
	s_and_b32 exec_lo, exec_lo, vcc_lo
	s_cbranch_execz .LBB17_55
; %bb.53:
	v_lshl_or_b32 v0, s21, 6, v9
	s_lshl_b32 s0, s1, 6
	s_mov_b32 s1, 0
	s_delay_alu instid0(VALU_DEP_1) | instskip(SKIP_1) | instid1(VALU_DEP_2)
	v_subrev_nc_u32_e32 v2, s0, v0
	v_add3_u32 v0, s24, v11, v0
	v_add_nc_u32_e32 v3, 4, v2
	s_delay_alu instid0(VALU_DEP_1) | instskip(NEXT) | instid1(VALU_DEP_1)
	v_min_u32_e32 v3, s4, v3
	v_sub_nc_u32_e32 v3, v2, v3
	s_delay_alu instid0(VALU_DEP_4) | instskip(NEXT) | instid1(VALU_DEP_2)
	v_subrev_nc_u32_e32 v2, s0, v0
	v_dual_mov_b32 v3, 0 :: v_dual_add_nc_u32 v0, 3, v3
	.p2align	6
.LBB17_54:                              ; =>This Inner Loop Header: Depth=1
	s_delay_alu instid0(VALU_DEP_1) | instskip(NEXT) | instid1(VALU_DEP_2)
	v_add_nc_u32_e32 v0, 1, v0
	v_lshlrev_b64 v[5:6], 2, v[2:3]
	v_add_nc_u32_e32 v2, 1, v2
	s_delay_alu instid0(VALU_DEP_3) | instskip(SKIP_3) | instid1(VALU_DEP_2)
	v_cmp_eq_u32_e32 vcc_lo, 1, v0
	v_cndmask_b32_e32 v7, v12, v1, vcc_lo
	v_cmp_eq_u32_e64 s0, 2, v0
	v_cmp_lt_u32_e32 vcc_lo, 2, v0
	v_cndmask_b32_e64 v7, v7, v4, s0
	v_add_co_u32 v5, s0, s12, v5
	s_delay_alu instid0(VALU_DEP_1) | instskip(SKIP_2) | instid1(VALU_DEP_1)
	v_add_co_ci_u32_e64 v6, s0, s13, v6, s0
	v_cmp_eq_u32_e64 s0, 3, v0
	s_or_b32 s1, vcc_lo, s1
	v_cndmask_b32_e64 v7, v7, v8, s0
	global_store_b32 v[5:6], v7, off
	s_and_not1_b32 exec_lo, exec_lo, s1
	s_cbranch_execnz .LBB17_54
.LBB17_55:
	s_endpgm
	.section	.rodata,"a",@progbits
	.p2align	6, 0x0
	.amdhsa_kernel Transform_S_S_000_16_16_VW_4
		.amdhsa_group_segment_fixed_size 0
		.amdhsa_private_segment_fixed_size 64
		.amdhsa_kernarg_size 344
		.amdhsa_user_sgpr_count 14
		.amdhsa_user_sgpr_dispatch_ptr 0
		.amdhsa_user_sgpr_queue_ptr 0
		.amdhsa_user_sgpr_kernarg_segment_ptr 1
		.amdhsa_user_sgpr_dispatch_id 0
		.amdhsa_user_sgpr_private_segment_size 0
		.amdhsa_wavefront_size32 1
		.amdhsa_uses_dynamic_stack 0
		.amdhsa_enable_private_segment 1
		.amdhsa_system_sgpr_workgroup_id_x 1
		.amdhsa_system_sgpr_workgroup_id_y 0
		.amdhsa_system_sgpr_workgroup_id_z 1
		.amdhsa_system_sgpr_workgroup_info 0
		.amdhsa_system_vgpr_workitem_id 0
		.amdhsa_next_free_vgpr 42
		.amdhsa_next_free_sgpr 34
		.amdhsa_reserve_vcc 1
		.amdhsa_float_round_mode_32 0
		.amdhsa_float_round_mode_16_64 0
		.amdhsa_float_denorm_mode_32 3
		.amdhsa_float_denorm_mode_16_64 3
		.amdhsa_dx10_clamp 1
		.amdhsa_ieee_mode 1
		.amdhsa_fp16_overflow 0
		.amdhsa_workgroup_processor_mode 1
		.amdhsa_memory_ordered 1
		.amdhsa_forward_progress 0
		.amdhsa_shared_vgpr_count 0
		.amdhsa_exception_fp_ieee_invalid_op 0
		.amdhsa_exception_fp_denorm_src 0
		.amdhsa_exception_fp_ieee_div_zero 0
		.amdhsa_exception_fp_ieee_overflow 0
		.amdhsa_exception_fp_ieee_underflow 0
		.amdhsa_exception_fp_ieee_inexact 0
		.amdhsa_exception_int_div_zero 0
	.end_amdhsa_kernel
	.text
.Lfunc_end17:
	.size	Transform_S_S_000_16_16_VW_4, .Lfunc_end17-Transform_S_S_000_16_16_VW_4
                                        ; -- End function
	.section	.AMDGPU.csdata,"",@progbits
; Kernel info:
; codeLenInByte = 1736
; NumSgprs: 36
; NumVgprs: 42
; ScratchSize: 64
; MemoryBound: 0
; FloatMode: 240
; IeeeMode: 1
; LDSByteSize: 0 bytes/workgroup (compile time only)
; SGPRBlocks: 4
; VGPRBlocks: 5
; NumSGPRsForWavesPerEU: 36
; NumVGPRsForWavesPerEU: 42
; Occupancy: 16
; WaveLimiterHint : 1
; COMPUTE_PGM_RSRC2:SCRATCH_EN: 1
; COMPUTE_PGM_RSRC2:USER_SGPR: 14
; COMPUTE_PGM_RSRC2:TRAP_HANDLER: 0
; COMPUTE_PGM_RSRC2:TGID_X_EN: 1
; COMPUTE_PGM_RSRC2:TGID_Y_EN: 0
; COMPUTE_PGM_RSRC2:TGID_Z_EN: 1
; COMPUTE_PGM_RSRC2:TIDIG_COMP_CNT: 0
	.text
	.protected	Transform_H_H_111_16_16_VW_1 ; -- Begin function Transform_H_H_111_16_16_VW_1
	.globl	Transform_H_H_111_16_16_VW_1
	.p2align	8
	.type	Transform_H_H_111_16_16_VW_1,@function
Transform_H_H_111_16_16_VW_1:           ; @Transform_H_H_111_16_16_VW_1
; %bb.0:
	s_mov_b64 s[22:23], s[0:1]
	s_load_b32 s0, s[0:1], 0x64
	v_mov_b32_e32 v41, v0
	s_mov_b32 s21, s15
	s_mov_b32 s24, s14
	;; [unrolled: 1-line block ×3, first 2 shown]
	s_waitcnt lgkmcnt(0)
	v_cmp_eq_u16_e64 s0, 0x100, s0
	s_delay_alu instid0(VALU_DEP_1)
	s_and_b32 vcc_lo, exec_lo, s0
	s_mov_b32 s0, -1
	s_cbranch_vccnz .LBB18_2
; %bb.1:
	s_add_u32 s8, s22, 0x58
	s_addc_u32 s9, s23, 0
	s_getpc_b64 s[0:1]
	s_add_u32 s0, s0, __PRETTY_FUNCTION__._ZN10amd_detail9transformIDF16_DF16_Lb1ELb1ELb1ELj16ELj16ELj1EEEvPT_PKS1_S4_T0_PKS5_S5_S7_jjjjjjbb@rel32@lo+4
	s_addc_u32 s1, s1, __PRETTY_FUNCTION__._ZN10amd_detail9transformIDF16_DF16_Lb1ELb1ELb1ELj16ELj16ELj1EEEvPT_PKS1_S4_T0_PKS5_S5_S7_jjjjjjbb@rel32@hi+12
	s_delay_alu instid0(SALU_CYCLE_1) | instskip(SKIP_3) | instid1(SALU_CYCLE_1)
	v_dual_mov_b32 v0, s0 :: v_dual_mov_b32 v1, s1
	s_getpc_b64 s[2:3]
	s_add_u32 s2, s2, __assert_fail@rel32@lo+4
	s_addc_u32 s3, s3, __assert_fail@rel32@hi+12
	s_swappc_b64 s[30:31], s[2:3]
	; divergent unreachable
	s_mov_b32 s0, 0
.LBB18_2:
	s_delay_alu instid0(SALU_CYCLE_1)
	s_and_not1_b32 vcc_lo, exec_lo, s0
	s_cbranch_vccnz .LBB18_13
; %bb.3:
	s_load_b256 s[0:7], s[22:23], 0x38
	s_waitcnt lgkmcnt(0)
	s_and_b32 s7, s0, 15
	s_lshr_b32 s8, s0, 4
	s_cmp_lg_u32 s7, 0
	s_cselect_b32 s7, -1, 0
	s_delay_alu instid0(SALU_CYCLE_1)
	s_cmp_lg_u32 s7, 0
	s_addc_u32 s7, s8, 0
	s_clause 0x1
	s_load_b32 s10, s[22:23], 0x18
	s_load_b64 s[8:9], s[22:23], 0x20
	v_cvt_f32_u32_e32 v0, s7
	s_sub_i32 s12, 0, s7
	s_delay_alu instid0(VALU_DEP_1) | instskip(SKIP_2) | instid1(VALU_DEP_1)
	v_rcp_iflag_f32_e32 v0, v0
	s_waitcnt_depctr 0xfff
	v_mul_f32_e32 v0, 0x4f7ffffe, v0
	v_cvt_u32_f32_e32 v0, v0
	s_delay_alu instid0(VALU_DEP_1) | instskip(SKIP_2) | instid1(VALU_DEP_2)
	v_readfirstlane_b32 s11, v0
	s_waitcnt lgkmcnt(0)
	v_mov_b32_e32 v0, s10
	s_mul_i32 s12, s12, s11
	s_delay_alu instid0(SALU_CYCLE_1) | instskip(NEXT) | instid1(SALU_CYCLE_1)
	s_mul_hi_u32 s12, s11, s12
	s_add_i32 s11, s11, s12
	s_cmp_eq_u64 s[8:9], 0
	s_mul_hi_u32 s10, s24, s11
	s_cbranch_scc1 .LBB18_5
; %bb.4:
	v_mov_b32_e32 v0, 0
	global_load_u16 v0, v0, s[8:9]
.LBB18_5:
	s_clause 0x1
	s_load_b32 s11, s[22:23], 0x28
	s_load_b64 s[8:9], s[22:23], 0x30
	s_waitcnt lgkmcnt(0)
	v_mov_b32_e32 v1, s11
	s_cmp_eq_u64 s[8:9], 0
	s_cbranch_scc1 .LBB18_7
; %bb.6:
	v_mov_b32_e32 v1, 0
	global_load_u16 v1, v1, s[8:9]
.LBB18_7:
	s_mul_i32 s8, s10, s7
	s_add_i32 s9, s10, 1
	s_sub_i32 s8, s24, s8
	v_and_b32_e32 v2, 15, v41
	s_sub_i32 s11, s8, s7
	s_cmp_ge_u32 s8, s7
	v_lshrrev_b32_e32 v4, 4, v41
	s_cselect_b32 s9, s9, s10
	s_cselect_b32 s8, s11, s8
	s_add_i32 s10, s9, 1
	s_cmp_ge_u32 s8, s7
	s_cselect_b32 s8, s10, s9
	s_delay_alu instid0(SALU_CYCLE_1) | instskip(NEXT) | instid1(SALU_CYCLE_1)
	s_mul_i32 s7, s8, s7
	s_sub_i32 s7, s24, s7
	s_delay_alu instid0(SALU_CYCLE_1) | instskip(SKIP_1) | instid1(VALU_DEP_2)
	v_lshl_or_b32 v3, s7, 4, v2
	v_lshl_add_u32 v2, s8, 4, v4
	v_cmp_gt_u32_e32 vcc_lo, s0, v3
	s_delay_alu instid0(VALU_DEP_2) | instskip(NEXT) | instid1(VALU_DEP_1)
	v_cmp_gt_u32_e64 s0, s1, v2
	s_and_b32 s0, vcc_lo, s0
	s_delay_alu instid0(SALU_CYCLE_1)
	s_and_saveexec_b32 s1, s0
	s_cbranch_execz .LBB18_13
; %bb.8:
	s_clause 0x1
	s_load_b128 s[8:11], s[22:23], 0x0
	s_load_b64 s[0:1], s[22:23], 0x10
	v_dual_mov_b32 v5, 0 :: v_dual_mov_b32 v4, 0
	s_mul_i32 s21, s21, s5
	s_waitcnt lgkmcnt(0)
	s_cmp_eq_u64 s[10:11], 0
	s_cbranch_scc1 .LBB18_10
; %bb.9:
	s_bitcmp1_b32 s6, 0
	v_mov_b32_e32 v7, 0
	s_cselect_b32 vcc_lo, -1, 0
	v_cndmask_b32_e32 v4, v3, v2, vcc_lo
	v_cndmask_b32_e32 v6, v2, v3, vcc_lo
	s_delay_alu instid0(VALU_DEP_2) | instskip(NEXT) | instid1(VALU_DEP_1)
	v_mul_lo_u32 v4, v4, s2
	v_add3_u32 v6, v6, s21, v4
	s_delay_alu instid0(VALU_DEP_1) | instskip(NEXT) | instid1(VALU_DEP_1)
	v_lshlrev_b64 v[6:7], 1, v[6:7]
	v_add_co_u32 v6, vcc_lo, s10, v6
	s_delay_alu instid0(VALU_DEP_2)
	v_add_co_ci_u32_e32 v7, vcc_lo, s11, v7, vcc_lo
	global_load_u16 v4, v[6:7], off
.LBB18_10:
	s_cmp_eq_u64 s[0:1], 0
	s_cbranch_scc1 .LBB18_12
; %bb.11:
	s_load_b32 s2, s[22:23], 0x50
	v_mov_b32_e32 v6, 0
	s_waitcnt lgkmcnt(0)
	s_bitcmp1_b32 s2, 8
	s_cselect_b32 vcc_lo, -1, 0
	v_cndmask_b32_e32 v5, v3, v2, vcc_lo
	v_cndmask_b32_e32 v7, v2, v3, vcc_lo
	s_delay_alu instid0(VALU_DEP_2) | instskip(NEXT) | instid1(VALU_DEP_1)
	v_mul_lo_u32 v5, v5, s3
	v_add3_u32 v5, v7, s21, v5
	s_delay_alu instid0(VALU_DEP_1) | instskip(NEXT) | instid1(VALU_DEP_1)
	v_lshlrev_b64 v[5:6], 1, v[5:6]
	v_add_co_u32 v5, vcc_lo, s0, v5
	s_delay_alu instid0(VALU_DEP_2)
	v_add_co_ci_u32_e32 v6, vcc_lo, s1, v6, vcc_lo
	global_load_u16 v5, v[5:6], off
.LBB18_12:
	v_mul_lo_u32 v6, v3, s4
	v_mov_b32_e32 v3, 0
	s_waitcnt vmcnt(0)
	v_mul_f16_e32 v5, v1, v5
	s_delay_alu instid0(VALU_DEP_1) | instskip(NEXT) | instid1(VALU_DEP_4)
	v_fmac_f16_e32 v5, v0, v4
	v_add3_u32 v2, v2, s21, v6
	s_delay_alu instid0(VALU_DEP_1) | instskip(NEXT) | instid1(VALU_DEP_1)
	v_lshlrev_b64 v[1:2], 1, v[2:3]
	v_add_co_u32 v0, vcc_lo, s8, v1
	s_delay_alu instid0(VALU_DEP_2)
	v_add_co_ci_u32_e32 v1, vcc_lo, s9, v2, vcc_lo
	global_store_b16 v[0:1], v5, off
.LBB18_13:
	s_endpgm
	.section	.rodata,"a",@progbits
	.p2align	6, 0x0
	.amdhsa_kernel Transform_H_H_111_16_16_VW_1
		.amdhsa_group_segment_fixed_size 0
		.amdhsa_private_segment_fixed_size 64
		.amdhsa_kernarg_size 344
		.amdhsa_user_sgpr_count 14
		.amdhsa_user_sgpr_dispatch_ptr 0
		.amdhsa_user_sgpr_queue_ptr 0
		.amdhsa_user_sgpr_kernarg_segment_ptr 1
		.amdhsa_user_sgpr_dispatch_id 0
		.amdhsa_user_sgpr_private_segment_size 0
		.amdhsa_wavefront_size32 1
		.amdhsa_uses_dynamic_stack 0
		.amdhsa_enable_private_segment 1
		.amdhsa_system_sgpr_workgroup_id_x 1
		.amdhsa_system_sgpr_workgroup_id_y 0
		.amdhsa_system_sgpr_workgroup_id_z 1
		.amdhsa_system_sgpr_workgroup_info 0
		.amdhsa_system_vgpr_workitem_id 0
		.amdhsa_next_free_vgpr 42
		.amdhsa_next_free_sgpr 34
		.amdhsa_reserve_vcc 1
		.amdhsa_float_round_mode_32 0
		.amdhsa_float_round_mode_16_64 0
		.amdhsa_float_denorm_mode_32 3
		.amdhsa_float_denorm_mode_16_64 3
		.amdhsa_dx10_clamp 1
		.amdhsa_ieee_mode 1
		.amdhsa_fp16_overflow 0
		.amdhsa_workgroup_processor_mode 1
		.amdhsa_memory_ordered 1
		.amdhsa_forward_progress 0
		.amdhsa_shared_vgpr_count 0
		.amdhsa_exception_fp_ieee_invalid_op 0
		.amdhsa_exception_fp_denorm_src 0
		.amdhsa_exception_fp_ieee_div_zero 0
		.amdhsa_exception_fp_ieee_overflow 0
		.amdhsa_exception_fp_ieee_underflow 0
		.amdhsa_exception_fp_ieee_inexact 0
		.amdhsa_exception_int_div_zero 0
	.end_amdhsa_kernel
	.text
.Lfunc_end18:
	.size	Transform_H_H_111_16_16_VW_1, .Lfunc_end18-Transform_H_H_111_16_16_VW_1
                                        ; -- End function
	.section	.AMDGPU.csdata,"",@progbits
; Kernel info:
; codeLenInByte = 744
; NumSgprs: 36
; NumVgprs: 42
; ScratchSize: 64
; MemoryBound: 0
; FloatMode: 240
; IeeeMode: 1
; LDSByteSize: 0 bytes/workgroup (compile time only)
; SGPRBlocks: 4
; VGPRBlocks: 5
; NumSGPRsForWavesPerEU: 36
; NumVGPRsForWavesPerEU: 42
; Occupancy: 16
; WaveLimiterHint : 1
; COMPUTE_PGM_RSRC2:SCRATCH_EN: 1
; COMPUTE_PGM_RSRC2:USER_SGPR: 14
; COMPUTE_PGM_RSRC2:TRAP_HANDLER: 0
; COMPUTE_PGM_RSRC2:TGID_X_EN: 1
; COMPUTE_PGM_RSRC2:TGID_Y_EN: 0
; COMPUTE_PGM_RSRC2:TGID_Z_EN: 1
; COMPUTE_PGM_RSRC2:TIDIG_COMP_CNT: 0
	.text
	.protected	Transform_H_H_111_16_16_VW_4 ; -- Begin function Transform_H_H_111_16_16_VW_4
	.globl	Transform_H_H_111_16_16_VW_4
	.p2align	8
	.type	Transform_H_H_111_16_16_VW_4,@function
Transform_H_H_111_16_16_VW_4:           ; @Transform_H_H_111_16_16_VW_4
; %bb.0:
	s_mov_b64 s[22:23], s[0:1]
	s_load_b32 s0, s[0:1], 0x64
	v_mov_b32_e32 v41, v0
	s_mov_b32 s24, s15
	s_mov_b32 s21, s14
	;; [unrolled: 1-line block ×3, first 2 shown]
	s_waitcnt lgkmcnt(0)
	v_cmp_eq_u16_e64 s0, 0x100, s0
	s_delay_alu instid0(VALU_DEP_1)
	s_and_b32 vcc_lo, exec_lo, s0
	s_mov_b32 s0, -1
	s_cbranch_vccnz .LBB19_2
; %bb.1:
	s_add_u32 s8, s22, 0x58
	s_addc_u32 s9, s23, 0
	s_getpc_b64 s[0:1]
	s_add_u32 s0, s0, __PRETTY_FUNCTION__._ZN10amd_detail9transformIDF16_DF16_Lb1ELb1ELb1ELj16ELj16ELj4EEEvPT_PKS1_S4_T0_PKS5_S5_S7_jjjjjjbb@rel32@lo+4
	s_addc_u32 s1, s1, __PRETTY_FUNCTION__._ZN10amd_detail9transformIDF16_DF16_Lb1ELb1ELb1ELj16ELj16ELj4EEEvPT_PKS1_S4_T0_PKS5_S5_S7_jjjjjjbb@rel32@hi+12
	s_delay_alu instid0(SALU_CYCLE_1) | instskip(SKIP_3) | instid1(SALU_CYCLE_1)
	v_dual_mov_b32 v0, s0 :: v_dual_mov_b32 v1, s1
	s_getpc_b64 s[2:3]
	s_add_u32 s2, s2, __assert_fail@rel32@lo+4
	s_addc_u32 s3, s3, __assert_fail@rel32@hi+12
	s_swappc_b64 s[30:31], s[2:3]
	; divergent unreachable
	s_mov_b32 s0, 0
.LBB19_2:
	s_delay_alu instid0(SALU_CYCLE_1)
	s_and_not1_b32 vcc_lo, exec_lo, s0
	s_cbranch_vccnz .LBB19_54
; %bb.3:
	s_load_b128 s[0:3], s[22:23], 0x38
	s_waitcnt lgkmcnt(0)
	s_and_b32 s4, s0, 15
	s_lshr_b32 s5, s0, 4
	s_cmp_lg_u32 s4, 0
	s_cselect_b32 s4, -1, 0
	s_delay_alu instid0(SALU_CYCLE_1)
	s_cmp_lg_u32 s4, 0
	s_addc_u32 s6, s5, 0
	s_clause 0x1
	s_load_b32 s7, s[22:23], 0x18
	s_load_b64 s[4:5], s[22:23], 0x20
	v_cvt_f32_u32_e32 v0, s6
	s_sub_i32 s9, 0, s6
	s_delay_alu instid0(VALU_DEP_1) | instskip(SKIP_3) | instid1(VALU_DEP_1)
	v_rcp_iflag_f32_e32 v0, v0
	s_waitcnt lgkmcnt(0)
	s_waitcnt_depctr 0xfff
	v_dual_mul_f32 v0, 0x4f7ffffe, v0 :: v_dual_mov_b32 v7, s7
	v_cvt_u32_f32_e32 v0, v0
	s_delay_alu instid0(VALU_DEP_1) | instskip(NEXT) | instid1(VALU_DEP_1)
	v_readfirstlane_b32 s8, v0
	s_mul_i32 s9, s9, s8
	s_delay_alu instid0(SALU_CYCLE_1) | instskip(NEXT) | instid1(SALU_CYCLE_1)
	s_mul_hi_u32 s9, s8, s9
	s_add_i32 s8, s8, s9
	s_cmp_eq_u64 s[4:5], 0
	s_mul_hi_u32 s7, s21, s8
	s_cbranch_scc1 .LBB19_5
; %bb.4:
	v_mov_b32_e32 v0, 0
	global_load_u16 v7, v0, s[4:5]
.LBB19_5:
	s_clause 0x1
	s_load_b32 s8, s[22:23], 0x28
	s_load_b64 s[4:5], s[22:23], 0x30
	s_waitcnt lgkmcnt(0)
	v_mov_b32_e32 v9, s8
	s_cmp_eq_u64 s[4:5], 0
	s_cbranch_scc1 .LBB19_7
; %bb.6:
	v_mov_b32_e32 v0, 0
	global_load_u16 v9, v0, s[4:5]
.LBB19_7:
	s_mul_i32 s4, s7, s6
	s_add_i32 s5, s7, 1
	s_sub_i32 s4, s21, s4
	v_and_b32_e32 v5, 15, v41
	s_sub_i32 s8, s4, s6
	s_cmp_ge_u32 s4, s6
	s_cselect_b32 s5, s5, s7
	s_cselect_b32 s4, s8, s4
	s_add_i32 s7, s5, 1
	s_cmp_ge_u32 s4, s6
	s_cselect_b32 s12, s7, s5
	s_delay_alu instid0(SALU_CYCLE_1) | instskip(NEXT) | instid1(SALU_CYCLE_1)
	s_mul_i32 s14, s12, s6
	s_sub_i32 s4, s21, s14
	s_delay_alu instid0(SALU_CYCLE_1) | instskip(NEXT) | instid1(VALU_DEP_1)
	v_lshl_or_b32 v2, s4, 4, v5
	v_cmp_gt_u32_e32 vcc_lo, s0, v2
	s_and_saveexec_b32 s0, vcc_lo
	s_cbranch_execz .LBB19_54
; %bb.8:
	v_lshrrev_b32_e32 v0, 2, v41
	s_clause 0x1
	s_load_b128 s[8:11], s[22:23], 0x48
	s_load_b128 s[4:7], s[22:23], 0x0
	s_waitcnt lgkmcnt(0)
	s_lshl_b32 s11, s12, 6
	s_load_b64 s[12:13], s[22:23], 0x10
	v_dual_mov_b32 v11, 0 :: v_dual_and_b32 v6, 0xfc, v0
	s_delay_alu instid0(VALU_DEP_1) | instskip(NEXT) | instid1(VALU_DEP_1)
	v_dual_mov_b32 v10, 0 :: v_dual_add_nc_u32 v1, s11, v6
	v_add_nc_u32_e32 v8, 4, v1
	v_mad_u64_u32 v[3:4], null, v2, s2, v[1:2]
	s_bitcmp1_b32 s10, 0
	s_delay_alu instid0(VALU_DEP_2) | instskip(SKIP_4) | instid1(VALU_DEP_2)
	v_sub_nc_u32_e64 v0, v8, s1 clamp
	s_cselect_b32 vcc_lo, -1, 0
	s_cmp_lg_u64 s[6:7], 0
	s_mul_i32 s24, s24, s9
	s_cselect_b32 s10, -1, 0
	v_sub_nc_u32_e32 v14, v3, v0
	v_sub_nc_u32_e32 v12, v1, v0
	s_cmp_eq_u64 s[6:7], 0
	s_cbranch_scc1 .LBB19_10
; %bb.9:
	s_delay_alu instid0(VALU_DEP_1) | instskip(NEXT) | instid1(VALU_DEP_1)
	v_mad_u64_u32 v[3:4], null, v12, s2, v[2:3]
	v_dual_mov_b32 v4, 0 :: v_dual_cndmask_b32 v3, v14, v3
	s_delay_alu instid0(VALU_DEP_1) | instskip(NEXT) | instid1(VALU_DEP_1)
	v_add_nc_u32_e32 v3, s24, v3
	v_lshlrev_b64 v[3:4], 1, v[3:4]
	s_delay_alu instid0(VALU_DEP_1) | instskip(NEXT) | instid1(VALU_DEP_1)
	v_add_co_u32 v3, s0, s6, v3
	v_add_co_ci_u32_e64 v4, s0, s7, v4, s0
	global_load_u16 v10, v[3:4], off
.LBB19_10:
	s_load_b32 s0, s[22:23], 0x50
	v_mad_u64_u32 v[3:4], null, v2, s3, v[1:2]
	v_mul_lo_u32 v13, v12, s3
	s_xor_b32 s15, vcc_lo, -1
	s_delay_alu instid0(VALU_DEP_2)
	v_sub_nc_u32_e32 v15, v3, v0
	s_waitcnt lgkmcnt(0)
	s_bitcmp1_b32 s0, 8
	s_cselect_b32 s0, -1, 0
	s_cmp_lg_u64 s[12:13], 0
	s_cselect_b32 s9, -1, 0
	s_cmp_eq_u64 s[12:13], 0
	s_cbranch_scc1 .LBB19_12
; %bb.11:
	v_dual_mov_b32 v4, 0 :: v_dual_add_nc_u32 v3, v13, v2
	s_delay_alu instid0(VALU_DEP_1) | instskip(NEXT) | instid1(VALU_DEP_1)
	v_cndmask_b32_e64 v3, v15, v3, s0
	v_add_nc_u32_e32 v3, s24, v3
	s_delay_alu instid0(VALU_DEP_1) | instskip(NEXT) | instid1(VALU_DEP_1)
	v_lshlrev_b64 v[3:4], 1, v[3:4]
	v_add_co_u32 v3, vcc_lo, s12, v3
	s_delay_alu instid0(VALU_DEP_2)
	v_add_co_ci_u32_e32 v4, vcc_lo, s13, v4, vcc_lo
	global_load_u16 v11, v[3:4], off
.LBB19_12:
	v_cndmask_b32_e64 v18, 0, 1, s15
	s_and_not1_b32 vcc_lo, exec_lo, s15
	s_cbranch_vccnz .LBB19_14
; %bb.13:
	v_add_nc_u32_e32 v3, 1, v14
	s_xor_b32 s0, s0, -1
	s_cbranch_execz .LBB19_15
	s_branch .LBB19_16
.LBB19_14:
                                        ; implicit-def: $vgpr3
	s_xor_b32 s0, s0, -1
.LBB19_15:
	v_mul_lo_u32 v3, s2, v12
	s_delay_alu instid0(VALU_DEP_1)
	v_add3_u32 v3, v3, s2, v2
.LBB19_16:
	v_cndmask_b32_e64 v19, 0, 1, s0
	s_and_not1_b32 vcc_lo, exec_lo, s0
	s_cbranch_vccnz .LBB19_18
; %bb.17:
	v_add_nc_u32_e32 v4, 1, v15
	s_cbranch_execz .LBB19_19
	s_branch .LBB19_20
.LBB19_18:
                                        ; implicit-def: $vgpr4
.LBB19_19:
	v_add3_u32 v4, v13, s3, v2
.LBB19_20:
	v_cndmask_b32_e64 v20, 0, 1, s10
	v_dual_mov_b32 v17, 0 :: v_dual_mov_b32 v16, 0
	s_and_not1_b32 vcc_lo, exec_lo, s10
	s_cbranch_vccnz .LBB19_22
; %bb.21:
	v_dual_mov_b32 v22, 0 :: v_dual_add_nc_u32 v21, s24, v3
	s_delay_alu instid0(VALU_DEP_1) | instskip(NEXT) | instid1(VALU_DEP_1)
	v_lshlrev_b64 v[21:22], 1, v[21:22]
	v_add_co_u32 v21, vcc_lo, s6, v21
	s_delay_alu instid0(VALU_DEP_2)
	v_add_co_ci_u32_e32 v22, vcc_lo, s7, v22, vcc_lo
	global_load_u16 v16, v[21:22], off
.LBB19_22:
	v_cndmask_b32_e64 v21, 0, 1, s9
	s_and_not1_b32 vcc_lo, exec_lo, s9
	s_cbranch_vccnz .LBB19_24
; %bb.23:
	v_dual_mov_b32 v4, 0 :: v_dual_add_nc_u32 v3, s24, v4
	s_delay_alu instid0(VALU_DEP_1) | instskip(NEXT) | instid1(VALU_DEP_1)
	v_lshlrev_b64 v[3:4], 1, v[3:4]
	v_add_co_u32 v3, vcc_lo, s12, v3
	s_delay_alu instid0(VALU_DEP_2)
	v_add_co_ci_u32_e32 v4, vcc_lo, s13, v4, vcc_lo
	global_load_u16 v17, v[3:4], off
.LBB19_24:
	v_cmp_ne_u32_e32 vcc_lo, 1, v18
	s_cbranch_vccnz .LBB19_26
; %bb.25:
	v_add_nc_u32_e32 v3, 2, v14
	s_cbranch_execz .LBB19_27
	s_branch .LBB19_28
.LBB19_26:
                                        ; implicit-def: $vgpr3
.LBB19_27:
	v_add_nc_u32_e32 v22, 2, v12
	s_delay_alu instid0(VALU_DEP_1)
	v_mad_u64_u32 v[3:4], null, v22, s2, v[2:3]
.LBB19_28:
	v_cmp_ne_u32_e32 vcc_lo, 1, v19
	s_cbranch_vccnz .LBB19_30
; %bb.29:
	v_add_nc_u32_e32 v4, 2, v15
	s_cbranch_execz .LBB19_31
	s_branch .LBB19_32
.LBB19_30:
                                        ; implicit-def: $vgpr4
.LBB19_31:
	s_lshl_b32 s0, s3, 1
	s_delay_alu instid0(SALU_CYCLE_1)
	v_add3_u32 v4, v13, s0, v2
.LBB19_32:
	v_cmp_ne_u32_e32 vcc_lo, 1, v20
	v_dual_mov_b32 v23, 0 :: v_dual_mov_b32 v22, 0
	s_cbranch_vccnz .LBB19_34
; %bb.33:
	v_dual_mov_b32 v25, 0 :: v_dual_add_nc_u32 v24, s24, v3
	s_delay_alu instid0(VALU_DEP_1) | instskip(NEXT) | instid1(VALU_DEP_1)
	v_lshlrev_b64 v[24:25], 1, v[24:25]
	v_add_co_u32 v24, vcc_lo, s6, v24
	s_delay_alu instid0(VALU_DEP_2)
	v_add_co_ci_u32_e32 v25, vcc_lo, s7, v25, vcc_lo
	global_load_u16 v22, v[24:25], off
.LBB19_34:
	v_cmp_ne_u32_e32 vcc_lo, 1, v21
	s_cbranch_vccnz .LBB19_36
; %bb.35:
	v_dual_mov_b32 v4, 0 :: v_dual_add_nc_u32 v3, s24, v4
	s_delay_alu instid0(VALU_DEP_1) | instskip(NEXT) | instid1(VALU_DEP_1)
	v_lshlrev_b64 v[3:4], 1, v[3:4]
	v_add_co_u32 v3, vcc_lo, s12, v3
	s_delay_alu instid0(VALU_DEP_2)
	v_add_co_ci_u32_e32 v4, vcc_lo, s13, v4, vcc_lo
	global_load_u16 v23, v[3:4], off
.LBB19_36:
	v_cmp_ne_u32_e32 vcc_lo, 1, v18
	s_cbranch_vccnz .LBB19_38
; %bb.37:
	v_add_nc_u32_e32 v3, 3, v14
	s_cbranch_execz .LBB19_39
	s_branch .LBB19_40
.LBB19_38:
                                        ; implicit-def: $vgpr3
.LBB19_39:
	v_add_nc_u32_e32 v12, 3, v12
	s_delay_alu instid0(VALU_DEP_1)
	v_mad_u64_u32 v[3:4], null, v12, s2, v[2:3]
.LBB19_40:
	v_cmp_ne_u32_e32 vcc_lo, 1, v19
	s_cbranch_vccnz .LBB19_42
; %bb.41:
	v_add_nc_u32_e32 v4, 3, v15
	s_cbranch_execz .LBB19_43
	s_branch .LBB19_44
.LBB19_42:
                                        ; implicit-def: $vgpr4
.LBB19_43:
	s_mul_i32 s0, s3, 3
	s_delay_alu instid0(SALU_CYCLE_1)
	v_add3_u32 v4, v13, s0, v2
.LBB19_44:
	v_cmp_ne_u32_e32 vcc_lo, 1, v20
	v_dual_mov_b32 v13, 0 :: v_dual_mov_b32 v12, 0
	s_cbranch_vccnz .LBB19_46
; %bb.45:
	v_dual_mov_b32 v15, 0 :: v_dual_add_nc_u32 v14, s24, v3
	s_delay_alu instid0(VALU_DEP_1) | instskip(NEXT) | instid1(VALU_DEP_1)
	v_lshlrev_b64 v[14:15], 1, v[14:15]
	v_add_co_u32 v14, vcc_lo, s6, v14
	s_delay_alu instid0(VALU_DEP_2)
	v_add_co_ci_u32_e32 v15, vcc_lo, s7, v15, vcc_lo
	global_load_u16 v12, v[14:15], off
.LBB19_46:
	v_cmp_ne_u32_e32 vcc_lo, 1, v21
	s_cbranch_vccnz .LBB19_48
; %bb.47:
	v_dual_mov_b32 v4, 0 :: v_dual_add_nc_u32 v3, s24, v4
	s_delay_alu instid0(VALU_DEP_1) | instskip(NEXT) | instid1(VALU_DEP_1)
	v_lshlrev_b64 v[3:4], 1, v[3:4]
	v_add_co_u32 v3, vcc_lo, s12, v3
	s_delay_alu instid0(VALU_DEP_2)
	v_add_co_ci_u32_e32 v4, vcc_lo, s13, v4, vcc_lo
	global_load_u16 v13, v[3:4], off
.LBB19_48:
	s_waitcnt vmcnt(0)
	v_mul_f16_e32 v4, v9, v11
	v_mul_f16_e32 v11, v9, v17
	;; [unrolled: 1-line block ×4, first 2 shown]
	s_mov_b32 s0, exec_lo
	v_fmac_f16_e32 v4, v7, v10
	v_fmac_f16_e32 v11, v7, v16
	;; [unrolled: 1-line block ×4, first 2 shown]
	v_cmpx_ge_u32_e64 s1, v8
	s_xor_b32 s0, exec_lo, s0
	s_cbranch_execz .LBB19_50
; %bb.49:
	v_mul_lo_u32 v2, v2, s8
	s_delay_alu instid0(VALU_DEP_1) | instskip(NEXT) | instid1(VALU_DEP_1)
	v_add3_u32 v2, v1, s24, v2
	v_sub_nc_u32_e32 v0, v2, v0
	v_mov_b32_e32 v1, 0
	s_delay_alu instid0(VALU_DEP_2) | instskip(NEXT) | instid1(VALU_DEP_2)
	v_add_nc_u32_e32 v5, 1, v0
	v_lshlrev_b64 v[12:13], 1, v[0:1]
	v_add_nc_u32_e32 v7, 2, v0
	v_add_nc_u32_e32 v0, 3, v0
	v_mov_b32_e32 v6, v1
	v_mov_b32_e32 v8, v1
	v_add_co_u32 v12, vcc_lo, s4, v12
	s_delay_alu instid0(VALU_DEP_3) | instskip(NEXT) | instid1(VALU_DEP_3)
	v_lshlrev_b64 v[5:6], 1, v[5:6]
	v_lshlrev_b64 v[7:8], 1, v[7:8]
	v_add_co_ci_u32_e32 v13, vcc_lo, s5, v13, vcc_lo
	v_lshlrev_b64 v[0:1], 1, v[0:1]
	s_delay_alu instid0(VALU_DEP_4)
	v_add_co_u32 v5, vcc_lo, s4, v5
	v_add_co_ci_u32_e32 v6, vcc_lo, s5, v6, vcc_lo
	v_add_co_u32 v7, vcc_lo, s4, v7
	v_add_co_ci_u32_e32 v8, vcc_lo, s5, v8, vcc_lo
	;; [unrolled: 2-line block ×3, first 2 shown]
	s_clause 0x3
	global_store_b16 v[12:13], v4, off
	global_store_b16 v[5:6], v11, off
	;; [unrolled: 1-line block ×4, first 2 shown]
                                        ; implicit-def: $vgpr5
                                        ; implicit-def: $vgpr6
                                        ; implicit-def: $vgpr1
                                        ; implicit-def: $vgpr8
                                        ; implicit-def: $vgpr0
                                        ; implicit-def: $vgpr4
                                        ; implicit-def: $vgpr11
                                        ; implicit-def: $vgpr3
                                        ; implicit-def: $vgpr9
.LBB19_50:
	s_and_not1_saveexec_b32 s0, s0
	s_cbranch_execz .LBB19_54
; %bb.51:
	v_cmp_gt_u32_e32 vcc_lo, 4, v0
	s_and_b32 exec_lo, exec_lo, vcc_lo
	s_cbranch_execz .LBB19_54
; %bb.52:
	v_lshl_or_b32 v2, s21, 4, v5
	s_lshl_b32 s0, s14, 4
	v_min_u32_e32 v5, s1, v8
	s_add_i32 s11, s11, s24
	v_perm_b32 v3, v9, v3, 0x5040100
	v_subrev_nc_u32_e32 v2, s0, v2
	s_mov_b32 s2, 0
	v_sub_nc_u32_e32 v5, v1, v5
	v_mov_b32_e32 v1, 0
	s_delay_alu instid0(VALU_DEP_3) | instskip(NEXT) | instid1(VALU_DEP_1)
	v_mul_lo_u32 v2, s8, v2
	v_add3_u32 v7, s11, v2, v6
	s_delay_alu instid0(VALU_DEP_4) | instskip(SKIP_2) | instid1(VALU_DEP_4)
	v_add_nc_u32_e32 v6, 3, v5
	v_perm_b32 v2, v11, v4, 0x5040100
	v_dual_mov_b32 v5, v1 :: v_dual_mov_b32 v4, v0
	v_mov_b32_e32 v0, v7
	.p2align	6
.LBB19_53:                              ; =>This Inner Loop Header: Depth=1
	s_delay_alu instid0(VALU_DEP_1) | instskip(SKIP_1) | instid1(VALU_DEP_4)
	v_lshlrev_b64 v[7:8], 1, v[0:1]
	v_add_nc_u32_e32 v6, 1, v6
	v_lshlrev_b32_e32 v9, 4, v4
	v_add_co_u32 v4, vcc_lo, v4, 1
	v_add_nc_u32_e32 v0, 1, v0
	s_delay_alu instid0(VALU_DEP_4)
	v_cmp_lt_u32_e64 s0, 2, v6
	v_add_co_u32 v7, s1, s4, v7
	v_lshrrev_b64 v[9:10], v9, v[2:3]
	v_add_co_ci_u32_e64 v8, s1, s5, v8, s1
	v_add_co_ci_u32_e32 v5, vcc_lo, 0, v5, vcc_lo
	s_or_b32 s2, s0, s2
	global_store_b16 v[7:8], v9, off
	s_and_not1_b32 exec_lo, exec_lo, s2
	s_cbranch_execnz .LBB19_53
.LBB19_54:
	s_endpgm
	.section	.rodata,"a",@progbits
	.p2align	6, 0x0
	.amdhsa_kernel Transform_H_H_111_16_16_VW_4
		.amdhsa_group_segment_fixed_size 0
		.amdhsa_private_segment_fixed_size 64
		.amdhsa_kernarg_size 344
		.amdhsa_user_sgpr_count 14
		.amdhsa_user_sgpr_dispatch_ptr 0
		.amdhsa_user_sgpr_queue_ptr 0
		.amdhsa_user_sgpr_kernarg_segment_ptr 1
		.amdhsa_user_sgpr_dispatch_id 0
		.amdhsa_user_sgpr_private_segment_size 0
		.amdhsa_wavefront_size32 1
		.amdhsa_uses_dynamic_stack 0
		.amdhsa_enable_private_segment 1
		.amdhsa_system_sgpr_workgroup_id_x 1
		.amdhsa_system_sgpr_workgroup_id_y 0
		.amdhsa_system_sgpr_workgroup_id_z 1
		.amdhsa_system_sgpr_workgroup_info 0
		.amdhsa_system_vgpr_workitem_id 0
		.amdhsa_next_free_vgpr 42
		.amdhsa_next_free_sgpr 34
		.amdhsa_reserve_vcc 1
		.amdhsa_float_round_mode_32 0
		.amdhsa_float_round_mode_16_64 0
		.amdhsa_float_denorm_mode_32 3
		.amdhsa_float_denorm_mode_16_64 3
		.amdhsa_dx10_clamp 1
		.amdhsa_ieee_mode 1
		.amdhsa_fp16_overflow 0
		.amdhsa_workgroup_processor_mode 1
		.amdhsa_memory_ordered 1
		.amdhsa_forward_progress 0
		.amdhsa_shared_vgpr_count 0
		.amdhsa_exception_fp_ieee_invalid_op 0
		.amdhsa_exception_fp_denorm_src 0
		.amdhsa_exception_fp_ieee_div_zero 0
		.amdhsa_exception_fp_ieee_overflow 0
		.amdhsa_exception_fp_ieee_underflow 0
		.amdhsa_exception_fp_ieee_inexact 0
		.amdhsa_exception_int_div_zero 0
	.end_amdhsa_kernel
	.text
.Lfunc_end19:
	.size	Transform_H_H_111_16_16_VW_4, .Lfunc_end19-Transform_H_H_111_16_16_VW_4
                                        ; -- End function
	.section	.AMDGPU.csdata,"",@progbits
; Kernel info:
; codeLenInByte = 1768
; NumSgprs: 36
; NumVgprs: 42
; ScratchSize: 64
; MemoryBound: 0
; FloatMode: 240
; IeeeMode: 1
; LDSByteSize: 0 bytes/workgroup (compile time only)
; SGPRBlocks: 4
; VGPRBlocks: 5
; NumSGPRsForWavesPerEU: 36
; NumVGPRsForWavesPerEU: 42
; Occupancy: 16
; WaveLimiterHint : 1
; COMPUTE_PGM_RSRC2:SCRATCH_EN: 1
; COMPUTE_PGM_RSRC2:USER_SGPR: 14
; COMPUTE_PGM_RSRC2:TRAP_HANDLER: 0
; COMPUTE_PGM_RSRC2:TGID_X_EN: 1
; COMPUTE_PGM_RSRC2:TGID_Y_EN: 0
; COMPUTE_PGM_RSRC2:TGID_Z_EN: 1
; COMPUTE_PGM_RSRC2:TIDIG_COMP_CNT: 0
	.text
	.protected	Transform_H_H_110_16_16_VW_1 ; -- Begin function Transform_H_H_110_16_16_VW_1
	.globl	Transform_H_H_110_16_16_VW_1
	.p2align	8
	.type	Transform_H_H_110_16_16_VW_1,@function
Transform_H_H_110_16_16_VW_1:           ; @Transform_H_H_110_16_16_VW_1
; %bb.0:
	s_mov_b64 s[22:23], s[0:1]
	s_load_b32 s0, s[0:1], 0x64
	v_mov_b32_e32 v41, v0
	s_mov_b32 s21, s15
	s_mov_b32 s24, s14
	;; [unrolled: 1-line block ×3, first 2 shown]
	s_waitcnt lgkmcnt(0)
	v_cmp_eq_u16_e64 s0, 0x100, s0
	s_delay_alu instid0(VALU_DEP_1)
	s_and_b32 vcc_lo, exec_lo, s0
	s_mov_b32 s0, -1
	s_cbranch_vccnz .LBB20_2
; %bb.1:
	s_add_u32 s8, s22, 0x58
	s_addc_u32 s9, s23, 0
	s_getpc_b64 s[0:1]
	s_add_u32 s0, s0, __PRETTY_FUNCTION__._ZN10amd_detail9transformIDF16_DF16_Lb1ELb1ELb0ELj16ELj16ELj1EEEvPT_PKS1_S4_T0_PKS5_S5_S7_jjjjjjbb@rel32@lo+4
	s_addc_u32 s1, s1, __PRETTY_FUNCTION__._ZN10amd_detail9transformIDF16_DF16_Lb1ELb1ELb0ELj16ELj16ELj1EEEvPT_PKS1_S4_T0_PKS5_S5_S7_jjjjjjbb@rel32@hi+12
	s_delay_alu instid0(SALU_CYCLE_1) | instskip(SKIP_3) | instid1(SALU_CYCLE_1)
	v_dual_mov_b32 v0, s0 :: v_dual_mov_b32 v1, s1
	s_getpc_b64 s[2:3]
	s_add_u32 s2, s2, __assert_fail@rel32@lo+4
	s_addc_u32 s3, s3, __assert_fail@rel32@hi+12
	s_swappc_b64 s[30:31], s[2:3]
	; divergent unreachable
	s_mov_b32 s0, 0
.LBB20_2:
	s_delay_alu instid0(SALU_CYCLE_1)
	s_and_not1_b32 vcc_lo, exec_lo, s0
	s_cbranch_vccnz .LBB20_13
; %bb.3:
	s_load_b256 s[0:7], s[22:23], 0x38
	s_waitcnt lgkmcnt(0)
	s_and_b32 s7, s0, 15
	s_lshr_b32 s8, s0, 4
	s_cmp_lg_u32 s7, 0
	s_cselect_b32 s7, -1, 0
	s_delay_alu instid0(SALU_CYCLE_1)
	s_cmp_lg_u32 s7, 0
	s_addc_u32 s7, s8, 0
	s_clause 0x1
	s_load_b32 s10, s[22:23], 0x18
	s_load_b64 s[8:9], s[22:23], 0x20
	v_cvt_f32_u32_e32 v0, s7
	s_sub_i32 s12, 0, s7
	s_delay_alu instid0(VALU_DEP_1) | instskip(SKIP_2) | instid1(VALU_DEP_1)
	v_rcp_iflag_f32_e32 v0, v0
	s_waitcnt_depctr 0xfff
	v_mul_f32_e32 v0, 0x4f7ffffe, v0
	v_cvt_u32_f32_e32 v0, v0
	s_delay_alu instid0(VALU_DEP_1) | instskip(SKIP_2) | instid1(VALU_DEP_2)
	v_readfirstlane_b32 s11, v0
	s_waitcnt lgkmcnt(0)
	v_mov_b32_e32 v0, s10
	s_mul_i32 s12, s12, s11
	s_delay_alu instid0(SALU_CYCLE_1) | instskip(NEXT) | instid1(SALU_CYCLE_1)
	s_mul_hi_u32 s12, s11, s12
	s_add_i32 s11, s11, s12
	s_cmp_eq_u64 s[8:9], 0
	s_mul_hi_u32 s10, s24, s11
	s_cbranch_scc1 .LBB20_5
; %bb.4:
	v_mov_b32_e32 v0, 0
	global_load_u16 v0, v0, s[8:9]
.LBB20_5:
	s_clause 0x1
	s_load_b32 s11, s[22:23], 0x28
	s_load_b64 s[8:9], s[22:23], 0x30
	s_waitcnt lgkmcnt(0)
	v_mov_b32_e32 v1, s11
	s_cmp_eq_u64 s[8:9], 0
	s_cbranch_scc1 .LBB20_7
; %bb.6:
	v_mov_b32_e32 v1, 0
	global_load_u16 v1, v1, s[8:9]
.LBB20_7:
	s_mul_i32 s8, s10, s7
	s_add_i32 s9, s10, 1
	s_sub_i32 s8, s24, s8
	v_and_b32_e32 v2, 15, v41
	s_sub_i32 s11, s8, s7
	s_cmp_ge_u32 s8, s7
	v_lshrrev_b32_e32 v3, 4, v41
	s_cselect_b32 s9, s9, s10
	s_cselect_b32 s8, s11, s8
	s_add_i32 s10, s9, 1
	s_cmp_ge_u32 s8, s7
	s_cselect_b32 s8, s10, s9
	s_delay_alu instid0(SALU_CYCLE_1) | instskip(SKIP_2) | instid1(SALU_CYCLE_1)
	s_mul_i32 s7, s8, s7
	v_lshl_add_u32 v3, s8, 4, v3
	s_sub_i32 s7, s24, s7
	v_lshl_or_b32 v2, s7, 4, v2
	s_delay_alu instid0(VALU_DEP_1) | instskip(NEXT) | instid1(VALU_DEP_3)
	v_cmp_gt_u32_e32 vcc_lo, s0, v2
	v_cmp_gt_u32_e64 s0, s1, v3
	s_delay_alu instid0(VALU_DEP_1) | instskip(NEXT) | instid1(SALU_CYCLE_1)
	s_and_b32 s0, vcc_lo, s0
	s_and_saveexec_b32 s1, s0
	s_cbranch_execz .LBB20_13
; %bb.8:
	s_clause 0x1
	s_load_b128 s[8:11], s[22:23], 0x0
	s_load_b64 s[0:1], s[22:23], 0x10
	v_dual_mov_b32 v5, 0 :: v_dual_mov_b32 v4, 0
	s_mul_i32 s21, s21, s5
	s_waitcnt lgkmcnt(0)
	s_cmp_eq_u64 s[10:11], 0
	s_cbranch_scc1 .LBB20_10
; %bb.9:
	s_bitcmp1_b32 s6, 0
	v_mov_b32_e32 v7, 0
	s_cselect_b32 vcc_lo, -1, 0
	v_cndmask_b32_e32 v4, v2, v3, vcc_lo
	v_cndmask_b32_e32 v6, v3, v2, vcc_lo
	s_delay_alu instid0(VALU_DEP_2) | instskip(NEXT) | instid1(VALU_DEP_1)
	v_mul_lo_u32 v4, v4, s2
	v_add3_u32 v6, v6, s21, v4
	s_delay_alu instid0(VALU_DEP_1) | instskip(NEXT) | instid1(VALU_DEP_1)
	v_lshlrev_b64 v[6:7], 1, v[6:7]
	v_add_co_u32 v6, vcc_lo, s10, v6
	s_delay_alu instid0(VALU_DEP_2)
	v_add_co_ci_u32_e32 v7, vcc_lo, s11, v7, vcc_lo
	global_load_u16 v4, v[6:7], off
.LBB20_10:
	s_cmp_eq_u64 s[0:1], 0
	s_cbranch_scc1 .LBB20_12
; %bb.11:
	s_load_b32 s2, s[22:23], 0x50
	v_mov_b32_e32 v6, 0
	s_waitcnt lgkmcnt(0)
	s_bitcmp1_b32 s2, 8
	s_cselect_b32 vcc_lo, -1, 0
	v_cndmask_b32_e32 v5, v2, v3, vcc_lo
	v_cndmask_b32_e32 v7, v3, v2, vcc_lo
	s_delay_alu instid0(VALU_DEP_2) | instskip(NEXT) | instid1(VALU_DEP_1)
	v_mul_lo_u32 v5, v5, s3
	v_add3_u32 v5, v7, s21, v5
	s_delay_alu instid0(VALU_DEP_1) | instskip(NEXT) | instid1(VALU_DEP_1)
	v_lshlrev_b64 v[5:6], 1, v[5:6]
	v_add_co_u32 v5, vcc_lo, s0, v5
	s_delay_alu instid0(VALU_DEP_2)
	v_add_co_ci_u32_e32 v6, vcc_lo, s1, v6, vcc_lo
	global_load_u16 v5, v[5:6], off
.LBB20_12:
	v_mul_lo_u32 v6, v3, s4
	v_mov_b32_e32 v3, 0
	s_waitcnt vmcnt(0)
	v_mul_f16_e32 v5, v1, v5
	s_delay_alu instid0(VALU_DEP_1) | instskip(NEXT) | instid1(VALU_DEP_4)
	v_fmac_f16_e32 v5, v0, v4
	v_add3_u32 v2, v2, s21, v6
	s_delay_alu instid0(VALU_DEP_1) | instskip(NEXT) | instid1(VALU_DEP_1)
	v_lshlrev_b64 v[1:2], 1, v[2:3]
	v_add_co_u32 v0, vcc_lo, s8, v1
	s_delay_alu instid0(VALU_DEP_2)
	v_add_co_ci_u32_e32 v1, vcc_lo, s9, v2, vcc_lo
	global_store_b16 v[0:1], v5, off
.LBB20_13:
	s_endpgm
	.section	.rodata,"a",@progbits
	.p2align	6, 0x0
	.amdhsa_kernel Transform_H_H_110_16_16_VW_1
		.amdhsa_group_segment_fixed_size 0
		.amdhsa_private_segment_fixed_size 64
		.amdhsa_kernarg_size 344
		.amdhsa_user_sgpr_count 14
		.amdhsa_user_sgpr_dispatch_ptr 0
		.amdhsa_user_sgpr_queue_ptr 0
		.amdhsa_user_sgpr_kernarg_segment_ptr 1
		.amdhsa_user_sgpr_dispatch_id 0
		.amdhsa_user_sgpr_private_segment_size 0
		.amdhsa_wavefront_size32 1
		.amdhsa_uses_dynamic_stack 0
		.amdhsa_enable_private_segment 1
		.amdhsa_system_sgpr_workgroup_id_x 1
		.amdhsa_system_sgpr_workgroup_id_y 0
		.amdhsa_system_sgpr_workgroup_id_z 1
		.amdhsa_system_sgpr_workgroup_info 0
		.amdhsa_system_vgpr_workitem_id 0
		.amdhsa_next_free_vgpr 42
		.amdhsa_next_free_sgpr 34
		.amdhsa_reserve_vcc 1
		.amdhsa_float_round_mode_32 0
		.amdhsa_float_round_mode_16_64 0
		.amdhsa_float_denorm_mode_32 3
		.amdhsa_float_denorm_mode_16_64 3
		.amdhsa_dx10_clamp 1
		.amdhsa_ieee_mode 1
		.amdhsa_fp16_overflow 0
		.amdhsa_workgroup_processor_mode 1
		.amdhsa_memory_ordered 1
		.amdhsa_forward_progress 0
		.amdhsa_shared_vgpr_count 0
		.amdhsa_exception_fp_ieee_invalid_op 0
		.amdhsa_exception_fp_denorm_src 0
		.amdhsa_exception_fp_ieee_div_zero 0
		.amdhsa_exception_fp_ieee_overflow 0
		.amdhsa_exception_fp_ieee_underflow 0
		.amdhsa_exception_fp_ieee_inexact 0
		.amdhsa_exception_int_div_zero 0
	.end_amdhsa_kernel
	.text
.Lfunc_end20:
	.size	Transform_H_H_110_16_16_VW_1, .Lfunc_end20-Transform_H_H_110_16_16_VW_1
                                        ; -- End function
	.section	.AMDGPU.csdata,"",@progbits
; Kernel info:
; codeLenInByte = 740
; NumSgprs: 36
; NumVgprs: 42
; ScratchSize: 64
; MemoryBound: 0
; FloatMode: 240
; IeeeMode: 1
; LDSByteSize: 0 bytes/workgroup (compile time only)
; SGPRBlocks: 4
; VGPRBlocks: 5
; NumSGPRsForWavesPerEU: 36
; NumVGPRsForWavesPerEU: 42
; Occupancy: 16
; WaveLimiterHint : 1
; COMPUTE_PGM_RSRC2:SCRATCH_EN: 1
; COMPUTE_PGM_RSRC2:USER_SGPR: 14
; COMPUTE_PGM_RSRC2:TRAP_HANDLER: 0
; COMPUTE_PGM_RSRC2:TGID_X_EN: 1
; COMPUTE_PGM_RSRC2:TGID_Y_EN: 0
; COMPUTE_PGM_RSRC2:TGID_Z_EN: 1
; COMPUTE_PGM_RSRC2:TIDIG_COMP_CNT: 0
	.text
	.protected	Transform_H_H_110_16_16_VW_4 ; -- Begin function Transform_H_H_110_16_16_VW_4
	.globl	Transform_H_H_110_16_16_VW_4
	.p2align	8
	.type	Transform_H_H_110_16_16_VW_4,@function
Transform_H_H_110_16_16_VW_4:           ; @Transform_H_H_110_16_16_VW_4
; %bb.0:
	s_mov_b64 s[22:23], s[0:1]
	s_load_b32 s0, s[0:1], 0x64
	v_mov_b32_e32 v41, v0
	s_mov_b32 s24, s15
	s_mov_b32 s21, s14
	;; [unrolled: 1-line block ×3, first 2 shown]
	s_waitcnt lgkmcnt(0)
	v_cmp_eq_u16_e64 s0, 0x100, s0
	s_delay_alu instid0(VALU_DEP_1)
	s_and_b32 vcc_lo, exec_lo, s0
	s_mov_b32 s0, -1
	s_cbranch_vccnz .LBB21_2
; %bb.1:
	s_add_u32 s8, s22, 0x58
	s_addc_u32 s9, s23, 0
	s_getpc_b64 s[0:1]
	s_add_u32 s0, s0, __PRETTY_FUNCTION__._ZN10amd_detail9transformIDF16_DF16_Lb1ELb1ELb0ELj16ELj16ELj4EEEvPT_PKS1_S4_T0_PKS5_S5_S7_jjjjjjbb@rel32@lo+4
	s_addc_u32 s1, s1, __PRETTY_FUNCTION__._ZN10amd_detail9transformIDF16_DF16_Lb1ELb1ELb0ELj16ELj16ELj4EEEvPT_PKS1_S4_T0_PKS5_S5_S7_jjjjjjbb@rel32@hi+12
	s_delay_alu instid0(SALU_CYCLE_1) | instskip(SKIP_3) | instid1(SALU_CYCLE_1)
	v_dual_mov_b32 v0, s0 :: v_dual_mov_b32 v1, s1
	s_getpc_b64 s[2:3]
	s_add_u32 s2, s2, __assert_fail@rel32@lo+4
	s_addc_u32 s3, s3, __assert_fail@rel32@hi+12
	s_swappc_b64 s[30:31], s[2:3]
	; divergent unreachable
	s_mov_b32 s0, 0
.LBB21_2:
	s_delay_alu instid0(SALU_CYCLE_1)
	s_and_not1_b32 vcc_lo, exec_lo, s0
	s_cbranch_vccnz .LBB21_54
; %bb.3:
	s_load_b256 s[4:11], s[22:23], 0x38
	s_waitcnt lgkmcnt(0)
	s_and_b32 s0, s4, 63
	s_lshr_b32 s1, s4, 6
	s_cmp_lg_u32 s0, 0
	s_cselect_b32 s0, -1, 0
	s_delay_alu instid0(SALU_CYCLE_1)
	s_cmp_lg_u32 s0, 0
	s_addc_u32 s2, s1, 0
	s_clause 0x1
	s_load_b32 s3, s[22:23], 0x18
	s_load_b64 s[0:1], s[22:23], 0x20
	v_cvt_f32_u32_e32 v0, s2
	s_sub_i32 s12, 0, s2
	s_delay_alu instid0(VALU_DEP_1) | instskip(SKIP_4) | instid1(VALU_DEP_2)
	v_rcp_iflag_f32_e32 v0, v0
	s_waitcnt_depctr 0xfff
	v_mul_f32_e32 v0, 0x4f7ffffe, v0
	s_waitcnt lgkmcnt(0)
	v_mov_b32_e32 v8, s3
	v_cvt_u32_f32_e32 v0, v0
	s_delay_alu instid0(VALU_DEP_1) | instskip(NEXT) | instid1(VALU_DEP_1)
	v_readfirstlane_b32 s11, v0
	s_mul_i32 s12, s12, s11
	s_delay_alu instid0(SALU_CYCLE_1) | instskip(NEXT) | instid1(SALU_CYCLE_1)
	s_mul_hi_u32 s12, s11, s12
	s_add_i32 s11, s11, s12
	s_cmp_eq_u64 s[0:1], 0
	s_mul_hi_u32 s3, s21, s11
	s_cbranch_scc1 .LBB21_5
; %bb.4:
	v_mov_b32_e32 v0, 0
	global_load_u16 v8, v0, s[0:1]
.LBB21_5:
	s_clause 0x1
	s_load_b32 s11, s[22:23], 0x28
	s_load_b64 s[0:1], s[22:23], 0x30
	s_waitcnt lgkmcnt(0)
	v_mov_b32_e32 v11, s11
	s_cmp_eq_u64 s[0:1], 0
	s_cbranch_scc1 .LBB21_7
; %bb.6:
	v_mov_b32_e32 v0, 0
	global_load_u16 v11, v0, s[0:1]
.LBB21_7:
	s_mul_i32 s0, s3, s2
	s_add_i32 s1, s3, 1
	s_sub_i32 s0, s21, s0
	v_lshrrev_b32_e32 v0, 4, v41
	s_sub_i32 s11, s0, s2
	s_cmp_ge_u32 s0, s2
	s_cselect_b32 s1, s1, s3
	s_cselect_b32 s0, s11, s0
	s_add_i32 s3, s1, 1
	s_cmp_ge_u32 s0, s2
	s_mov_b32 s0, exec_lo
	s_cselect_b32 s1, s3, s1
	s_delay_alu instid0(SALU_CYCLE_1) | instskip(NEXT) | instid1(VALU_DEP_1)
	v_lshl_add_u32 v0, s1, 4, v0
	v_cmpx_gt_u32_e64 s5, v0
	s_cbranch_execz .LBB21_54
; %bb.8:
	v_dual_mov_b32 v14, 0 :: v_dual_lshlrev_b32 v1, 2, v41
	s_mul_i32 s1, s1, s2
	s_clause 0x1
	s_load_b128 s[12:15], s[22:23], 0x0
	s_load_b64 s[2:3], s[22:23], 0x10
	v_and_b32_e32 v9, 60, v1
	s_sub_i32 s0, s21, s1
	s_bitcmp1_b32 s10, 0
	v_mov_b32_e32 v15, 0
	s_cselect_b32 vcc_lo, -1, 0
	v_lshl_or_b32 v12, s0, 6, v9
	s_mul_i32 s24, s24, s9
	s_delay_alu instid0(VALU_DEP_1) | instskip(NEXT) | instid1(VALU_DEP_1)
	v_add_nc_u32_e32 v13, 4, v12
	v_sub_nc_u32_e64 v10, v13, s4 clamp
	s_waitcnt lgkmcnt(0)
	s_cmp_lg_u64 s[14:15], 0
	s_cselect_b32 s5, -1, 0
	s_delay_alu instid0(VALU_DEP_1) | instskip(SKIP_1) | instid1(VALU_DEP_1)
	v_sub_nc_u32_e32 v4, v12, v10
	s_cmp_eq_u64 s[14:15], 0
	v_mad_u64_u32 v[1:2], null, v0, s6, v[4:5]
	s_cbranch_scc1 .LBB21_10
; %bb.9:
	s_delay_alu instid0(VALU_DEP_1) | instskip(NEXT) | instid1(VALU_DEP_1)
	v_mad_u64_u32 v[2:3], null, v4, s6, v[0:1]
	v_dual_mov_b32 v3, 0 :: v_dual_cndmask_b32 v2, v2, v1
	s_delay_alu instid0(VALU_DEP_1) | instskip(NEXT) | instid1(VALU_DEP_1)
	v_add_nc_u32_e32 v2, s24, v2
	v_lshlrev_b64 v[2:3], 1, v[2:3]
	s_delay_alu instid0(VALU_DEP_1) | instskip(NEXT) | instid1(VALU_DEP_1)
	v_add_co_u32 v2, s0, s14, v2
	v_add_co_ci_u32_e64 v3, s0, s15, v3, s0
	global_load_u16 v14, v[2:3], off
.LBB21_10:
	s_load_b32 s0, s[22:23], 0x50
	v_mad_u64_u32 v[2:3], null, v0, s7, v[4:5]
	s_xor_b32 s10, vcc_lo, -1
	s_waitcnt lgkmcnt(0)
	s_bitcmp1_b32 s0, 8
	s_cselect_b32 s0, -1, 0
	s_cmp_lg_u64 s[2:3], 0
	s_cselect_b32 s9, -1, 0
	s_cmp_eq_u64 s[2:3], 0
	s_cbranch_scc1 .LBB21_12
; %bb.11:
	v_mad_u64_u32 v[5:6], null, v4, s7, v[0:1]
	s_delay_alu instid0(VALU_DEP_1) | instskip(NEXT) | instid1(VALU_DEP_1)
	v_cndmask_b32_e64 v3, v5, v2, s0
	v_dual_mov_b32 v6, 0 :: v_dual_add_nc_u32 v5, s24, v3
	s_delay_alu instid0(VALU_DEP_1) | instskip(NEXT) | instid1(VALU_DEP_1)
	v_lshlrev_b64 v[5:6], 1, v[5:6]
	v_add_co_u32 v5, vcc_lo, s2, v5
	s_delay_alu instid0(VALU_DEP_2)
	v_add_co_ci_u32_e32 v6, vcc_lo, s3, v6, vcc_lo
	global_load_u16 v15, v[5:6], off
.LBB21_12:
	v_cndmask_b32_e64 v3, 0, 1, s10
	s_and_not1_b32 vcc_lo, exec_lo, s10
	s_cbranch_vccnz .LBB21_14
; %bb.13:
	v_mul_lo_u32 v5, s6, v4
	s_delay_alu instid0(VALU_DEP_1)
	v_add3_u32 v5, v5, s6, v0
	s_xor_b32 s0, s0, -1
	s_cbranch_execz .LBB21_15
	s_branch .LBB21_16
.LBB21_14:
                                        ; implicit-def: $vgpr5
	s_xor_b32 s0, s0, -1
.LBB21_15:
	v_add_nc_u32_e32 v5, 1, v1
.LBB21_16:
	v_cndmask_b32_e64 v18, 0, 1, s0
	s_and_not1_b32 vcc_lo, exec_lo, s0
	s_cbranch_vccnz .LBB21_18
; %bb.17:
	v_mul_lo_u32 v6, s7, v4
	s_delay_alu instid0(VALU_DEP_1)
	v_add3_u32 v6, v6, s7, v0
	s_cbranch_execz .LBB21_19
	s_branch .LBB21_20
.LBB21_18:
                                        ; implicit-def: $vgpr6
.LBB21_19:
	v_add_nc_u32_e32 v6, 1, v2
.LBB21_20:
	v_cndmask_b32_e64 v19, 0, 1, s5
	v_dual_mov_b32 v17, 0 :: v_dual_mov_b32 v16, 0
	s_and_not1_b32 vcc_lo, exec_lo, s5
	s_cbranch_vccnz .LBB21_22
; %bb.21:
	v_dual_mov_b32 v21, 0 :: v_dual_add_nc_u32 v20, s24, v5
	s_delay_alu instid0(VALU_DEP_1) | instskip(NEXT) | instid1(VALU_DEP_1)
	v_lshlrev_b64 v[20:21], 1, v[20:21]
	v_add_co_u32 v20, vcc_lo, s14, v20
	s_delay_alu instid0(VALU_DEP_2)
	v_add_co_ci_u32_e32 v21, vcc_lo, s15, v21, vcc_lo
	global_load_u16 v16, v[20:21], off
.LBB21_22:
	v_cndmask_b32_e64 v20, 0, 1, s9
	s_and_not1_b32 vcc_lo, exec_lo, s9
	s_cbranch_vccnz .LBB21_24
; %bb.23:
	v_dual_mov_b32 v6, 0 :: v_dual_add_nc_u32 v5, s24, v6
	s_delay_alu instid0(VALU_DEP_1) | instskip(NEXT) | instid1(VALU_DEP_1)
	v_lshlrev_b64 v[5:6], 1, v[5:6]
	v_add_co_u32 v5, vcc_lo, s2, v5
	s_delay_alu instid0(VALU_DEP_2)
	v_add_co_ci_u32_e32 v6, vcc_lo, s3, v6, vcc_lo
	global_load_u16 v17, v[5:6], off
.LBB21_24:
	v_cmp_ne_u32_e32 vcc_lo, 1, v3
	v_add_nc_u32_e32 v21, 2, v4
	s_cbranch_vccnz .LBB21_26
; %bb.25:
	s_delay_alu instid0(VALU_DEP_1)
	v_mad_u64_u32 v[5:6], null, v21, s6, v[0:1]
	s_cbranch_execz .LBB21_27
	s_branch .LBB21_28
.LBB21_26:
                                        ; implicit-def: $vgpr5
.LBB21_27:
	v_add_nc_u32_e32 v5, 2, v1
.LBB21_28:
	v_cmp_ne_u32_e32 vcc_lo, 1, v18
	s_cbranch_vccnz .LBB21_30
; %bb.29:
	v_mad_u64_u32 v[6:7], null, v21, s7, v[0:1]
	s_cbranch_execz .LBB21_31
	s_branch .LBB21_32
.LBB21_30:
                                        ; implicit-def: $vgpr6
.LBB21_31:
	v_add_nc_u32_e32 v6, 2, v2
.LBB21_32:
	v_cmp_ne_u32_e32 vcc_lo, 1, v19
	v_mov_b32_e32 v21, 0
	v_mov_b32_e32 v7, 0
	s_cbranch_vccnz .LBB21_34
; %bb.33:
	v_dual_mov_b32 v23, 0 :: v_dual_add_nc_u32 v22, s24, v5
	s_delay_alu instid0(VALU_DEP_1) | instskip(NEXT) | instid1(VALU_DEP_1)
	v_lshlrev_b64 v[22:23], 1, v[22:23]
	v_add_co_u32 v22, vcc_lo, s14, v22
	s_delay_alu instid0(VALU_DEP_2)
	v_add_co_ci_u32_e32 v23, vcc_lo, s15, v23, vcc_lo
	global_load_u16 v7, v[22:23], off
.LBB21_34:
	v_cmp_ne_u32_e32 vcc_lo, 1, v20
	s_cbranch_vccnz .LBB21_36
; %bb.35:
	v_dual_mov_b32 v6, 0 :: v_dual_add_nc_u32 v5, s24, v6
	s_delay_alu instid0(VALU_DEP_1) | instskip(NEXT) | instid1(VALU_DEP_1)
	v_lshlrev_b64 v[5:6], 1, v[5:6]
	v_add_co_u32 v5, vcc_lo, s2, v5
	s_delay_alu instid0(VALU_DEP_2)
	v_add_co_ci_u32_e32 v6, vcc_lo, s3, v6, vcc_lo
	global_load_u16 v21, v[5:6], off
.LBB21_36:
	v_cmp_ne_u32_e32 vcc_lo, 1, v3
	v_add_nc_u32_e32 v6, 3, v4
	s_cbranch_vccnz .LBB21_38
; %bb.37:
	s_delay_alu instid0(VALU_DEP_1)
	v_mad_u64_u32 v[3:4], null, v6, s6, v[0:1]
	s_cbranch_execz .LBB21_39
	s_branch .LBB21_40
.LBB21_38:
                                        ; implicit-def: $vgpr3
.LBB21_39:
	v_add_nc_u32_e32 v3, 3, v1
.LBB21_40:
	v_cmp_ne_u32_e32 vcc_lo, 1, v18
	s_cbranch_vccnz .LBB21_42
; %bb.41:
	v_mad_u64_u32 v[4:5], null, v6, s7, v[0:1]
	s_cbranch_execz .LBB21_43
	s_branch .LBB21_44
.LBB21_42:
                                        ; implicit-def: $vgpr4
.LBB21_43:
	v_add_nc_u32_e32 v4, 3, v2
.LBB21_44:
	v_cmp_ne_u32_e32 vcc_lo, 1, v19
	v_dual_mov_b32 v6, 0 :: v_dual_mov_b32 v1, 0
	s_cbranch_vccnz .LBB21_46
; %bb.45:
	v_dual_mov_b32 v2, 0 :: v_dual_add_nc_u32 v1, s24, v3
	s_delay_alu instid0(VALU_DEP_1) | instskip(NEXT) | instid1(VALU_DEP_1)
	v_lshlrev_b64 v[1:2], 1, v[1:2]
	v_add_co_u32 v1, vcc_lo, s14, v1
	s_delay_alu instid0(VALU_DEP_2)
	v_add_co_ci_u32_e32 v2, vcc_lo, s15, v2, vcc_lo
	global_load_u16 v1, v[1:2], off
.LBB21_46:
	v_cmp_ne_u32_e32 vcc_lo, 1, v20
	s_cbranch_vccnz .LBB21_48
; %bb.47:
	v_dual_mov_b32 v3, 0 :: v_dual_add_nc_u32 v2, s24, v4
	s_delay_alu instid0(VALU_DEP_1) | instskip(NEXT) | instid1(VALU_DEP_1)
	v_lshlrev_b64 v[2:3], 1, v[2:3]
	v_add_co_u32 v2, vcc_lo, s2, v2
	s_delay_alu instid0(VALU_DEP_2)
	v_add_co_ci_u32_e32 v3, vcc_lo, s3, v3, vcc_lo
	global_load_u16 v6, v[2:3], off
.LBB21_48:
	s_waitcnt vmcnt(0)
	v_mul_f16_e32 v2, v11, v15
	v_mul_f16_e32 v4, v11, v17
	;; [unrolled: 1-line block ×4, first 2 shown]
	v_mul_lo_u32 v0, v0, s8
	v_fmac_f16_e32 v2, v8, v14
	v_fmac_f16_e32 v4, v8, v16
	;; [unrolled: 1-line block ×4, first 2 shown]
	s_mov_b32 s0, exec_lo
	v_cmpx_ge_u32_e64 s4, v13
	s_xor_b32 s0, exec_lo, s0
	s_cbranch_execz .LBB21_50
; %bb.49:
	v_add_nc_u32_e32 v1, s24, v12
	s_delay_alu instid0(VALU_DEP_1) | instskip(NEXT) | instid1(VALU_DEP_1)
	v_sub_nc_u32_e32 v6, v1, v10
	v_dual_mov_b32 v1, 0 :: v_dual_add_nc_u32 v0, v6, v0
	s_delay_alu instid0(VALU_DEP_1) | instskip(NEXT) | instid1(VALU_DEP_2)
	v_mov_b32_e32 v7, v1
	v_dual_mov_b32 v9, v1 :: v_dual_add_nc_u32 v8, 2, v0
	v_add_nc_u32_e32 v6, 1, v0
	v_lshlrev_b64 v[10:11], 1, v[0:1]
	v_add_nc_u32_e32 v0, 3, v0
	s_delay_alu instid0(VALU_DEP_4) | instskip(NEXT) | instid1(VALU_DEP_4)
	v_lshlrev_b64 v[8:9], 1, v[8:9]
	v_lshlrev_b64 v[6:7], 1, v[6:7]
	s_delay_alu instid0(VALU_DEP_4) | instskip(SKIP_2) | instid1(VALU_DEP_4)
	v_add_co_u32 v10, vcc_lo, s12, v10
	v_add_co_ci_u32_e32 v11, vcc_lo, s13, v11, vcc_lo
	v_lshlrev_b64 v[0:1], 1, v[0:1]
	v_add_co_u32 v6, vcc_lo, s12, v6
	v_add_co_ci_u32_e32 v7, vcc_lo, s13, v7, vcc_lo
	v_add_co_u32 v8, vcc_lo, s12, v8
	v_add_co_ci_u32_e32 v9, vcc_lo, s13, v9, vcc_lo
	;; [unrolled: 2-line block ×3, first 2 shown]
	s_clause 0x3
	global_store_b16 v[10:11], v2, off
	global_store_b16 v[6:7], v4, off
	global_store_b16 v[8:9], v5, off
	global_store_b16 v[0:1], v3, off
                                        ; implicit-def: $vgpr10
                                        ; implicit-def: $vgpr3
                                        ; implicit-def: $vgpr5
                                        ; implicit-def: $vgpr4
                                        ; implicit-def: $vgpr2
                                        ; implicit-def: $vgpr9
                                        ; implicit-def: $vgpr0
.LBB21_50:
	s_and_not1_saveexec_b32 s0, s0
	s_cbranch_execz .LBB21_54
; %bb.51:
	v_cmp_gt_u32_e32 vcc_lo, 4, v10
	s_and_b32 exec_lo, exec_lo, vcc_lo
	s_cbranch_execz .LBB21_54
; %bb.52:
	v_lshl_or_b32 v1, s21, 6, v9
	s_lshl_b32 s0, s1, 6
	v_perm_b32 v3, v3, v5, 0x5040100
	v_perm_b32 v2, v4, v2, 0x5040100
	s_mov_b32 s2, 0
	v_subrev_nc_u32_e32 v6, s0, v1
	v_add3_u32 v9, s24, v0, v1
	v_mov_b32_e32 v1, 0
	s_delay_alu instid0(VALU_DEP_3) | instskip(NEXT) | instid1(VALU_DEP_1)
	v_add_nc_u32_e32 v7, 4, v6
	v_min_u32_e32 v8, s4, v7
	s_delay_alu instid0(VALU_DEP_1) | instskip(SKIP_2) | instid1(VALU_DEP_3)
	v_sub_nc_u32_e32 v6, v6, v8
	v_sub_nc_u32_e32 v0, v7, v8
	v_subrev_nc_u32_e32 v7, s0, v9
	v_dual_mov_b32 v5, v1 :: v_dual_add_nc_u32 v6, 3, v6
	s_delay_alu instid0(VALU_DEP_3) | instskip(NEXT) | instid1(VALU_DEP_3)
	v_mov_b32_e32 v4, v0
	v_mov_b32_e32 v0, v7
	.p2align	6
.LBB21_53:                              ; =>This Inner Loop Header: Depth=1
	s_delay_alu instid0(VALU_DEP_1) | instskip(NEXT) | instid1(VALU_DEP_4)
	v_lshlrev_b64 v[7:8], 1, v[0:1]
	v_add_nc_u32_e32 v6, 1, v6
	s_delay_alu instid0(VALU_DEP_4) | instskip(SKIP_2) | instid1(VALU_DEP_4)
	v_lshlrev_b32_e32 v9, 4, v4
	v_add_co_u32 v4, vcc_lo, v4, 1
	v_add_nc_u32_e32 v0, 1, v0
	v_cmp_lt_u32_e64 s0, 2, v6
	v_add_co_u32 v7, s1, s12, v7
	v_lshrrev_b64 v[9:10], v9, v[2:3]
	v_add_co_ci_u32_e64 v8, s1, s13, v8, s1
	v_add_co_ci_u32_e32 v5, vcc_lo, 0, v5, vcc_lo
	s_or_b32 s2, s0, s2
	global_store_b16 v[7:8], v9, off
	s_and_not1_b32 exec_lo, exec_lo, s2
	s_cbranch_execnz .LBB21_53
.LBB21_54:
	s_endpgm
	.section	.rodata,"a",@progbits
	.p2align	6, 0x0
	.amdhsa_kernel Transform_H_H_110_16_16_VW_4
		.amdhsa_group_segment_fixed_size 0
		.amdhsa_private_segment_fixed_size 64
		.amdhsa_kernarg_size 344
		.amdhsa_user_sgpr_count 14
		.amdhsa_user_sgpr_dispatch_ptr 0
		.amdhsa_user_sgpr_queue_ptr 0
		.amdhsa_user_sgpr_kernarg_segment_ptr 1
		.amdhsa_user_sgpr_dispatch_id 0
		.amdhsa_user_sgpr_private_segment_size 0
		.amdhsa_wavefront_size32 1
		.amdhsa_uses_dynamic_stack 0
		.amdhsa_enable_private_segment 1
		.amdhsa_system_sgpr_workgroup_id_x 1
		.amdhsa_system_sgpr_workgroup_id_y 0
		.amdhsa_system_sgpr_workgroup_id_z 1
		.amdhsa_system_sgpr_workgroup_info 0
		.amdhsa_system_vgpr_workitem_id 0
		.amdhsa_next_free_vgpr 42
		.amdhsa_next_free_sgpr 34
		.amdhsa_reserve_vcc 1
		.amdhsa_float_round_mode_32 0
		.amdhsa_float_round_mode_16_64 0
		.amdhsa_float_denorm_mode_32 3
		.amdhsa_float_denorm_mode_16_64 3
		.amdhsa_dx10_clamp 1
		.amdhsa_ieee_mode 1
		.amdhsa_fp16_overflow 0
		.amdhsa_workgroup_processor_mode 1
		.amdhsa_memory_ordered 1
		.amdhsa_forward_progress 0
		.amdhsa_shared_vgpr_count 0
		.amdhsa_exception_fp_ieee_invalid_op 0
		.amdhsa_exception_fp_denorm_src 0
		.amdhsa_exception_fp_ieee_div_zero 0
		.amdhsa_exception_fp_ieee_overflow 0
		.amdhsa_exception_fp_ieee_underflow 0
		.amdhsa_exception_fp_ieee_inexact 0
		.amdhsa_exception_int_div_zero 0
	.end_amdhsa_kernel
	.text
.Lfunc_end21:
	.size	Transform_H_H_110_16_16_VW_4, .Lfunc_end21-Transform_H_H_110_16_16_VW_4
                                        ; -- End function
	.section	.AMDGPU.csdata,"",@progbits
; Kernel info:
; codeLenInByte = 1740
; NumSgprs: 36
; NumVgprs: 42
; ScratchSize: 64
; MemoryBound: 0
; FloatMode: 240
; IeeeMode: 1
; LDSByteSize: 0 bytes/workgroup (compile time only)
; SGPRBlocks: 4
; VGPRBlocks: 5
; NumSGPRsForWavesPerEU: 36
; NumVGPRsForWavesPerEU: 42
; Occupancy: 16
; WaveLimiterHint : 1
; COMPUTE_PGM_RSRC2:SCRATCH_EN: 1
; COMPUTE_PGM_RSRC2:USER_SGPR: 14
; COMPUTE_PGM_RSRC2:TRAP_HANDLER: 0
; COMPUTE_PGM_RSRC2:TGID_X_EN: 1
; COMPUTE_PGM_RSRC2:TGID_Y_EN: 0
; COMPUTE_PGM_RSRC2:TGID_Z_EN: 1
; COMPUTE_PGM_RSRC2:TIDIG_COMP_CNT: 0
	.text
	.protected	Transform_H_H_101_16_16_VW_1 ; -- Begin function Transform_H_H_101_16_16_VW_1
	.globl	Transform_H_H_101_16_16_VW_1
	.p2align	8
	.type	Transform_H_H_101_16_16_VW_1,@function
Transform_H_H_101_16_16_VW_1:           ; @Transform_H_H_101_16_16_VW_1
; %bb.0:
	s_mov_b64 s[22:23], s[0:1]
	s_load_b32 s0, s[0:1], 0x64
	v_mov_b32_e32 v41, v0
	s_mov_b32 s21, s15
	s_mov_b32 s24, s14
	;; [unrolled: 1-line block ×3, first 2 shown]
	s_waitcnt lgkmcnt(0)
	v_cmp_eq_u16_e64 s0, 0x100, s0
	s_delay_alu instid0(VALU_DEP_1)
	s_and_b32 vcc_lo, exec_lo, s0
	s_mov_b32 s0, -1
	s_cbranch_vccnz .LBB22_2
; %bb.1:
	s_add_u32 s8, s22, 0x58
	s_addc_u32 s9, s23, 0
	s_getpc_b64 s[0:1]
	s_add_u32 s0, s0, __PRETTY_FUNCTION__._ZN10amd_detail9transformIDF16_DF16_Lb1ELb0ELb1ELj16ELj16ELj1EEEvPT_PKS1_S4_T0_PKS5_S5_S7_jjjjjjbb@rel32@lo+4
	s_addc_u32 s1, s1, __PRETTY_FUNCTION__._ZN10amd_detail9transformIDF16_DF16_Lb1ELb0ELb1ELj16ELj16ELj1EEEvPT_PKS1_S4_T0_PKS5_S5_S7_jjjjjjbb@rel32@hi+12
	s_delay_alu instid0(SALU_CYCLE_1) | instskip(SKIP_3) | instid1(SALU_CYCLE_1)
	v_dual_mov_b32 v0, s0 :: v_dual_mov_b32 v1, s1
	s_getpc_b64 s[2:3]
	s_add_u32 s2, s2, __assert_fail@rel32@lo+4
	s_addc_u32 s3, s3, __assert_fail@rel32@hi+12
	s_swappc_b64 s[30:31], s[2:3]
	; divergent unreachable
	s_mov_b32 s0, 0
.LBB22_2:
	s_delay_alu instid0(SALU_CYCLE_1)
	s_and_not1_b32 vcc_lo, exec_lo, s0
	s_cbranch_vccnz .LBB22_13
; %bb.3:
	s_load_b256 s[0:7], s[22:23], 0x38
	s_waitcnt lgkmcnt(0)
	s_and_b32 s7, s0, 15
	s_lshr_b32 s8, s0, 4
	s_cmp_lg_u32 s7, 0
	s_cselect_b32 s7, -1, 0
	s_delay_alu instid0(SALU_CYCLE_1)
	s_cmp_lg_u32 s7, 0
	s_addc_u32 s7, s8, 0
	s_clause 0x1
	s_load_b32 s10, s[22:23], 0x18
	s_load_b64 s[8:9], s[22:23], 0x20
	v_cvt_f32_u32_e32 v0, s7
	s_sub_i32 s12, 0, s7
	s_delay_alu instid0(VALU_DEP_1) | instskip(SKIP_2) | instid1(VALU_DEP_1)
	v_rcp_iflag_f32_e32 v0, v0
	s_waitcnt_depctr 0xfff
	v_mul_f32_e32 v0, 0x4f7ffffe, v0
	v_cvt_u32_f32_e32 v0, v0
	s_delay_alu instid0(VALU_DEP_1) | instskip(SKIP_2) | instid1(VALU_DEP_2)
	v_readfirstlane_b32 s11, v0
	s_waitcnt lgkmcnt(0)
	v_mov_b32_e32 v0, s10
	s_mul_i32 s12, s12, s11
	s_delay_alu instid0(SALU_CYCLE_1) | instskip(NEXT) | instid1(SALU_CYCLE_1)
	s_mul_hi_u32 s12, s11, s12
	s_add_i32 s11, s11, s12
	s_cmp_eq_u64 s[8:9], 0
	s_mul_hi_u32 s10, s24, s11
	s_cbranch_scc1 .LBB22_5
; %bb.4:
	v_mov_b32_e32 v0, 0
	global_load_u16 v0, v0, s[8:9]
.LBB22_5:
	s_clause 0x1
	s_load_b32 s11, s[22:23], 0x28
	s_load_b64 s[8:9], s[22:23], 0x30
	s_waitcnt lgkmcnt(0)
	v_mov_b32_e32 v1, s11
	s_cmp_eq_u64 s[8:9], 0
	s_cbranch_scc1 .LBB22_7
; %bb.6:
	v_mov_b32_e32 v1, 0
	global_load_u16 v1, v1, s[8:9]
.LBB22_7:
	s_mul_i32 s8, s10, s7
	s_add_i32 s9, s10, 1
	s_sub_i32 s8, s24, s8
	v_and_b32_e32 v2, 15, v41
	s_sub_i32 s11, s8, s7
	s_cmp_ge_u32 s8, s7
	v_lshrrev_b32_e32 v4, 4, v41
	s_cselect_b32 s9, s9, s10
	s_cselect_b32 s8, s11, s8
	s_add_i32 s10, s9, 1
	s_cmp_ge_u32 s8, s7
	s_cselect_b32 s8, s10, s9
	s_delay_alu instid0(SALU_CYCLE_1) | instskip(NEXT) | instid1(SALU_CYCLE_1)
	s_mul_i32 s7, s8, s7
	s_sub_i32 s7, s24, s7
	s_delay_alu instid0(SALU_CYCLE_1) | instskip(SKIP_1) | instid1(VALU_DEP_2)
	v_lshl_or_b32 v3, s7, 4, v2
	v_lshl_add_u32 v2, s8, 4, v4
	v_cmp_gt_u32_e32 vcc_lo, s0, v3
	s_delay_alu instid0(VALU_DEP_2) | instskip(NEXT) | instid1(VALU_DEP_1)
	v_cmp_gt_u32_e64 s0, s1, v2
	s_and_b32 s0, vcc_lo, s0
	s_delay_alu instid0(SALU_CYCLE_1)
	s_and_saveexec_b32 s1, s0
	s_cbranch_execz .LBB22_13
; %bb.8:
	s_clause 0x1
	s_load_b128 s[8:11], s[22:23], 0x0
	s_load_b64 s[0:1], s[22:23], 0x10
	v_dual_mov_b32 v5, 0 :: v_dual_mov_b32 v4, 0
	s_mul_i32 s21, s21, s5
	s_waitcnt lgkmcnt(0)
	s_cmp_eq_u64 s[10:11], 0
	s_cbranch_scc1 .LBB22_10
; %bb.9:
	s_bitcmp1_b32 s6, 0
	v_mov_b32_e32 v7, 0
	s_cselect_b32 vcc_lo, -1, 0
	v_cndmask_b32_e32 v4, v3, v2, vcc_lo
	v_cndmask_b32_e32 v6, v2, v3, vcc_lo
	s_delay_alu instid0(VALU_DEP_2) | instskip(NEXT) | instid1(VALU_DEP_1)
	v_mul_lo_u32 v4, v4, s2
	v_add3_u32 v6, v6, s21, v4
	s_delay_alu instid0(VALU_DEP_1) | instskip(NEXT) | instid1(VALU_DEP_1)
	v_lshlrev_b64 v[6:7], 1, v[6:7]
	v_add_co_u32 v6, vcc_lo, s10, v6
	s_delay_alu instid0(VALU_DEP_2)
	v_add_co_ci_u32_e32 v7, vcc_lo, s11, v7, vcc_lo
	global_load_u16 v4, v[6:7], off
.LBB22_10:
	s_cmp_eq_u64 s[0:1], 0
	s_cbranch_scc1 .LBB22_12
; %bb.11:
	s_load_b32 s2, s[22:23], 0x50
	v_mov_b32_e32 v6, 0
	s_waitcnt lgkmcnt(0)
	s_bitcmp1_b32 s2, 8
	s_cselect_b32 vcc_lo, -1, 0
	v_cndmask_b32_e32 v5, v2, v3, vcc_lo
	v_cndmask_b32_e32 v7, v3, v2, vcc_lo
	s_delay_alu instid0(VALU_DEP_2) | instskip(NEXT) | instid1(VALU_DEP_1)
	v_mul_lo_u32 v5, v5, s3
	v_add3_u32 v5, v7, s21, v5
	s_delay_alu instid0(VALU_DEP_1) | instskip(NEXT) | instid1(VALU_DEP_1)
	v_lshlrev_b64 v[5:6], 1, v[5:6]
	v_add_co_u32 v5, vcc_lo, s0, v5
	s_delay_alu instid0(VALU_DEP_2)
	v_add_co_ci_u32_e32 v6, vcc_lo, s1, v6, vcc_lo
	global_load_u16 v5, v[5:6], off
.LBB22_12:
	v_mul_lo_u32 v6, v3, s4
	v_mov_b32_e32 v3, 0
	s_waitcnt vmcnt(0)
	v_mul_f16_e32 v5, v1, v5
	s_delay_alu instid0(VALU_DEP_1) | instskip(NEXT) | instid1(VALU_DEP_4)
	v_fmac_f16_e32 v5, v0, v4
	v_add3_u32 v2, v2, s21, v6
	s_delay_alu instid0(VALU_DEP_1) | instskip(NEXT) | instid1(VALU_DEP_1)
	v_lshlrev_b64 v[1:2], 1, v[2:3]
	v_add_co_u32 v0, vcc_lo, s8, v1
	s_delay_alu instid0(VALU_DEP_2)
	v_add_co_ci_u32_e32 v1, vcc_lo, s9, v2, vcc_lo
	global_store_b16 v[0:1], v5, off
.LBB22_13:
	s_endpgm
	.section	.rodata,"a",@progbits
	.p2align	6, 0x0
	.amdhsa_kernel Transform_H_H_101_16_16_VW_1
		.amdhsa_group_segment_fixed_size 0
		.amdhsa_private_segment_fixed_size 64
		.amdhsa_kernarg_size 344
		.amdhsa_user_sgpr_count 14
		.amdhsa_user_sgpr_dispatch_ptr 0
		.amdhsa_user_sgpr_queue_ptr 0
		.amdhsa_user_sgpr_kernarg_segment_ptr 1
		.amdhsa_user_sgpr_dispatch_id 0
		.amdhsa_user_sgpr_private_segment_size 0
		.amdhsa_wavefront_size32 1
		.amdhsa_uses_dynamic_stack 0
		.amdhsa_enable_private_segment 1
		.amdhsa_system_sgpr_workgroup_id_x 1
		.amdhsa_system_sgpr_workgroup_id_y 0
		.amdhsa_system_sgpr_workgroup_id_z 1
		.amdhsa_system_sgpr_workgroup_info 0
		.amdhsa_system_vgpr_workitem_id 0
		.amdhsa_next_free_vgpr 42
		.amdhsa_next_free_sgpr 34
		.amdhsa_reserve_vcc 1
		.amdhsa_float_round_mode_32 0
		.amdhsa_float_round_mode_16_64 0
		.amdhsa_float_denorm_mode_32 3
		.amdhsa_float_denorm_mode_16_64 3
		.amdhsa_dx10_clamp 1
		.amdhsa_ieee_mode 1
		.amdhsa_fp16_overflow 0
		.amdhsa_workgroup_processor_mode 1
		.amdhsa_memory_ordered 1
		.amdhsa_forward_progress 0
		.amdhsa_shared_vgpr_count 0
		.amdhsa_exception_fp_ieee_invalid_op 0
		.amdhsa_exception_fp_denorm_src 0
		.amdhsa_exception_fp_ieee_div_zero 0
		.amdhsa_exception_fp_ieee_overflow 0
		.amdhsa_exception_fp_ieee_underflow 0
		.amdhsa_exception_fp_ieee_inexact 0
		.amdhsa_exception_int_div_zero 0
	.end_amdhsa_kernel
	.text
.Lfunc_end22:
	.size	Transform_H_H_101_16_16_VW_1, .Lfunc_end22-Transform_H_H_101_16_16_VW_1
                                        ; -- End function
	.section	.AMDGPU.csdata,"",@progbits
; Kernel info:
; codeLenInByte = 744
; NumSgprs: 36
; NumVgprs: 42
; ScratchSize: 64
; MemoryBound: 0
; FloatMode: 240
; IeeeMode: 1
; LDSByteSize: 0 bytes/workgroup (compile time only)
; SGPRBlocks: 4
; VGPRBlocks: 5
; NumSGPRsForWavesPerEU: 36
; NumVGPRsForWavesPerEU: 42
; Occupancy: 16
; WaveLimiterHint : 1
; COMPUTE_PGM_RSRC2:SCRATCH_EN: 1
; COMPUTE_PGM_RSRC2:USER_SGPR: 14
; COMPUTE_PGM_RSRC2:TRAP_HANDLER: 0
; COMPUTE_PGM_RSRC2:TGID_X_EN: 1
; COMPUTE_PGM_RSRC2:TGID_Y_EN: 0
; COMPUTE_PGM_RSRC2:TGID_Z_EN: 1
; COMPUTE_PGM_RSRC2:TIDIG_COMP_CNT: 0
	.text
	.protected	Transform_H_H_101_16_16_VW_4 ; -- Begin function Transform_H_H_101_16_16_VW_4
	.globl	Transform_H_H_101_16_16_VW_4
	.p2align	8
	.type	Transform_H_H_101_16_16_VW_4,@function
Transform_H_H_101_16_16_VW_4:           ; @Transform_H_H_101_16_16_VW_4
; %bb.0:
	s_mov_b64 s[22:23], s[0:1]
	s_load_b32 s0, s[0:1], 0x64
	v_mov_b32_e32 v41, v0
	s_mov_b32 s24, s15
	s_mov_b32 s21, s14
	;; [unrolled: 1-line block ×3, first 2 shown]
	s_waitcnt lgkmcnt(0)
	v_cmp_eq_u16_e64 s0, 0x100, s0
	s_delay_alu instid0(VALU_DEP_1)
	s_and_b32 vcc_lo, exec_lo, s0
	s_mov_b32 s0, -1
	s_cbranch_vccnz .LBB23_2
; %bb.1:
	s_add_u32 s8, s22, 0x58
	s_addc_u32 s9, s23, 0
	s_getpc_b64 s[0:1]
	s_add_u32 s0, s0, __PRETTY_FUNCTION__._ZN10amd_detail9transformIDF16_DF16_Lb1ELb0ELb1ELj16ELj16ELj4EEEvPT_PKS1_S4_T0_PKS5_S5_S7_jjjjjjbb@rel32@lo+4
	s_addc_u32 s1, s1, __PRETTY_FUNCTION__._ZN10amd_detail9transformIDF16_DF16_Lb1ELb0ELb1ELj16ELj16ELj4EEEvPT_PKS1_S4_T0_PKS5_S5_S7_jjjjjjbb@rel32@hi+12
	s_delay_alu instid0(SALU_CYCLE_1) | instskip(SKIP_3) | instid1(SALU_CYCLE_1)
	v_dual_mov_b32 v0, s0 :: v_dual_mov_b32 v1, s1
	s_getpc_b64 s[2:3]
	s_add_u32 s2, s2, __assert_fail@rel32@lo+4
	s_addc_u32 s3, s3, __assert_fail@rel32@hi+12
	s_swappc_b64 s[30:31], s[2:3]
	; divergent unreachable
	s_mov_b32 s0, 0
.LBB23_2:
	s_delay_alu instid0(SALU_CYCLE_1)
	s_and_not1_b32 vcc_lo, exec_lo, s0
	s_cbranch_vccnz .LBB23_54
; %bb.3:
	s_load_b128 s[0:3], s[22:23], 0x38
	s_waitcnt lgkmcnt(0)
	s_and_b32 s4, s0, 15
	s_lshr_b32 s5, s0, 4
	s_cmp_lg_u32 s4, 0
	s_cselect_b32 s4, -1, 0
	s_delay_alu instid0(SALU_CYCLE_1)
	s_cmp_lg_u32 s4, 0
	s_addc_u32 s6, s5, 0
	s_clause 0x1
	s_load_b32 s7, s[22:23], 0x18
	s_load_b64 s[4:5], s[22:23], 0x20
	v_cvt_f32_u32_e32 v0, s6
	s_sub_i32 s9, 0, s6
	s_delay_alu instid0(VALU_DEP_1) | instskip(SKIP_4) | instid1(VALU_DEP_2)
	v_rcp_iflag_f32_e32 v0, v0
	s_waitcnt_depctr 0xfff
	v_mul_f32_e32 v0, 0x4f7ffffe, v0
	s_waitcnt lgkmcnt(0)
	v_mov_b32_e32 v8, s7
	v_cvt_u32_f32_e32 v0, v0
	s_delay_alu instid0(VALU_DEP_1) | instskip(NEXT) | instid1(VALU_DEP_1)
	v_readfirstlane_b32 s8, v0
	s_mul_i32 s9, s9, s8
	s_delay_alu instid0(SALU_CYCLE_1) | instskip(NEXT) | instid1(SALU_CYCLE_1)
	s_mul_hi_u32 s9, s8, s9
	s_add_i32 s8, s8, s9
	s_cmp_eq_u64 s[4:5], 0
	s_mul_hi_u32 s7, s21, s8
	s_cbranch_scc1 .LBB23_5
; %bb.4:
	v_mov_b32_e32 v0, 0
	global_load_u16 v8, v0, s[4:5]
.LBB23_5:
	s_clause 0x1
	s_load_b32 s8, s[22:23], 0x28
	s_load_b64 s[4:5], s[22:23], 0x30
	s_waitcnt lgkmcnt(0)
	v_mov_b32_e32 v10, s8
	s_cmp_eq_u64 s[4:5], 0
	s_cbranch_scc1 .LBB23_7
; %bb.6:
	v_mov_b32_e32 v0, 0
	global_load_u16 v10, v0, s[4:5]
.LBB23_7:
	s_mul_i32 s4, s7, s6
	s_add_i32 s5, s7, 1
	s_sub_i32 s4, s21, s4
	v_and_b32_e32 v6, 15, v41
	s_sub_i32 s8, s4, s6
	s_cmp_ge_u32 s4, s6
	s_cselect_b32 s5, s5, s7
	s_cselect_b32 s4, s8, s4
	s_add_i32 s7, s5, 1
	s_cmp_ge_u32 s4, s6
	s_cselect_b32 s12, s7, s5
	s_delay_alu instid0(SALU_CYCLE_1) | instskip(NEXT) | instid1(SALU_CYCLE_1)
	s_mul_i32 s14, s12, s6
	s_sub_i32 s4, s21, s14
	s_delay_alu instid0(SALU_CYCLE_1) | instskip(NEXT) | instid1(VALU_DEP_1)
	v_lshl_or_b32 v2, s4, 4, v6
	v_cmp_gt_u32_e32 vcc_lo, s0, v2
	s_and_saveexec_b32 s0, vcc_lo
	s_cbranch_execz .LBB23_54
; %bb.8:
	v_lshrrev_b32_e32 v0, 2, v41
	s_clause 0x1
	s_load_b128 s[8:11], s[22:23], 0x48
	s_load_b128 s[4:7], s[22:23], 0x0
	s_waitcnt lgkmcnt(0)
	s_lshl_b32 s11, s12, 6
	s_load_b64 s[12:13], s[22:23], 0x10
	v_mov_b32_e32 v11, 0
	v_dual_mov_b32 v12, 0 :: v_dual_and_b32 v7, 0xfc, v0
	s_delay_alu instid0(VALU_DEP_1) | instskip(NEXT) | instid1(VALU_DEP_1)
	v_add_nc_u32_e32 v1, s11, v7
	v_add_nc_u32_e32 v9, 4, v1
	v_mad_u64_u32 v[3:4], null, v2, s2, v[1:2]
	s_bitcmp1_b32 s10, 0
	s_delay_alu instid0(VALU_DEP_2) | instskip(SKIP_4) | instid1(VALU_DEP_2)
	v_sub_nc_u32_e64 v0, v9, s1 clamp
	s_cselect_b32 vcc_lo, -1, 0
	s_cmp_lg_u64 s[6:7], 0
	s_mul_i32 s24, s24, s9
	s_cselect_b32 s10, -1, 0
	v_sub_nc_u32_e32 v15, v3, v0
	v_sub_nc_u32_e32 v13, v1, v0
	s_cmp_eq_u64 s[6:7], 0
	s_cbranch_scc1 .LBB23_10
; %bb.9:
	s_delay_alu instid0(VALU_DEP_1) | instskip(NEXT) | instid1(VALU_DEP_1)
	v_mad_u64_u32 v[3:4], null, v13, s2, v[2:3]
	v_dual_mov_b32 v4, 0 :: v_dual_cndmask_b32 v3, v15, v3
	s_delay_alu instid0(VALU_DEP_1) | instskip(NEXT) | instid1(VALU_DEP_1)
	v_add_nc_u32_e32 v3, s24, v3
	v_lshlrev_b64 v[3:4], 1, v[3:4]
	s_delay_alu instid0(VALU_DEP_1) | instskip(NEXT) | instid1(VALU_DEP_1)
	v_add_co_u32 v3, s0, s6, v3
	v_add_co_ci_u32_e64 v4, s0, s7, v4, s0
	global_load_u16 v11, v[3:4], off
.LBB23_10:
	s_load_b32 s0, s[22:23], 0x50
	v_mad_u64_u32 v[3:4], null, v2, s3, v[1:2]
	s_xor_b32 s15, vcc_lo, -1
	s_delay_alu instid0(VALU_DEP_1)
	v_sub_nc_u32_e32 v14, v3, v0
	s_waitcnt lgkmcnt(0)
	s_bitcmp1_b32 s0, 8
	s_cselect_b32 s0, -1, 0
	s_cmp_lg_u64 s[12:13], 0
	s_cselect_b32 s9, -1, 0
	s_cmp_eq_u64 s[12:13], 0
	s_cbranch_scc1 .LBB23_12
; %bb.11:
	v_mad_u64_u32 v[3:4], null, v13, s3, v[2:3]
	s_delay_alu instid0(VALU_DEP_1) | instskip(NEXT) | instid1(VALU_DEP_1)
	v_cndmask_b32_e64 v3, v3, v14, s0
	v_dual_mov_b32 v4, 0 :: v_dual_add_nc_u32 v3, s24, v3
	s_delay_alu instid0(VALU_DEP_1) | instskip(NEXT) | instid1(VALU_DEP_1)
	v_lshlrev_b64 v[3:4], 1, v[3:4]
	v_add_co_u32 v3, vcc_lo, s12, v3
	s_delay_alu instid0(VALU_DEP_2)
	v_add_co_ci_u32_e32 v4, vcc_lo, s13, v4, vcc_lo
	global_load_u16 v12, v[3:4], off
.LBB23_12:
	v_cndmask_b32_e64 v18, 0, 1, s15
	s_and_not1_b32 vcc_lo, exec_lo, s15
	s_cbranch_vccnz .LBB23_14
; %bb.13:
	v_add_nc_u32_e32 v3, 1, v15
	s_xor_b32 s0, s0, -1
	s_cbranch_execz .LBB23_15
	s_branch .LBB23_16
.LBB23_14:
                                        ; implicit-def: $vgpr3
	s_xor_b32 s0, s0, -1
.LBB23_15:
	v_mul_lo_u32 v3, s2, v13
	s_delay_alu instid0(VALU_DEP_1)
	v_add3_u32 v3, v3, s2, v2
.LBB23_16:
	v_cndmask_b32_e64 v19, 0, 1, s0
	s_and_not1_b32 vcc_lo, exec_lo, s0
	s_cbranch_vccnz .LBB23_18
; %bb.17:
	v_mul_lo_u32 v4, s3, v13
	s_delay_alu instid0(VALU_DEP_1)
	v_add3_u32 v4, v4, s3, v2
	s_cbranch_execz .LBB23_19
	s_branch .LBB23_20
.LBB23_18:
                                        ; implicit-def: $vgpr4
.LBB23_19:
	v_add_nc_u32_e32 v4, 1, v14
.LBB23_20:
	v_cndmask_b32_e64 v20, 0, 1, s10
	v_dual_mov_b32 v17, 0 :: v_dual_mov_b32 v16, 0
	s_and_not1_b32 vcc_lo, exec_lo, s10
	s_cbranch_vccnz .LBB23_22
; %bb.21:
	v_dual_mov_b32 v22, 0 :: v_dual_add_nc_u32 v21, s24, v3
	s_delay_alu instid0(VALU_DEP_1) | instskip(NEXT) | instid1(VALU_DEP_1)
	v_lshlrev_b64 v[21:22], 1, v[21:22]
	v_add_co_u32 v21, vcc_lo, s6, v21
	s_delay_alu instid0(VALU_DEP_2)
	v_add_co_ci_u32_e32 v22, vcc_lo, s7, v22, vcc_lo
	global_load_u16 v16, v[21:22], off
.LBB23_22:
	v_cndmask_b32_e64 v21, 0, 1, s9
	s_and_not1_b32 vcc_lo, exec_lo, s9
	s_cbranch_vccnz .LBB23_24
; %bb.23:
	v_dual_mov_b32 v4, 0 :: v_dual_add_nc_u32 v3, s24, v4
	s_delay_alu instid0(VALU_DEP_1) | instskip(NEXT) | instid1(VALU_DEP_1)
	v_lshlrev_b64 v[3:4], 1, v[3:4]
	v_add_co_u32 v3, vcc_lo, s12, v3
	s_delay_alu instid0(VALU_DEP_2)
	v_add_co_ci_u32_e32 v4, vcc_lo, s13, v4, vcc_lo
	global_load_u16 v17, v[3:4], off
.LBB23_24:
	v_cmp_ne_u32_e32 vcc_lo, 1, v18
	s_cbranch_vccnz .LBB23_26
; %bb.25:
	v_add_nc_u32_e32 v3, 2, v15
	v_add_nc_u32_e32 v22, 2, v13
	s_cbranch_execz .LBB23_27
	s_branch .LBB23_28
.LBB23_26:
                                        ; implicit-def: $vgpr3
	v_add_nc_u32_e32 v22, 2, v13
.LBB23_27:
	s_delay_alu instid0(VALU_DEP_1)
	v_mad_u64_u32 v[3:4], null, v22, s2, v[2:3]
.LBB23_28:
	v_cmp_ne_u32_e32 vcc_lo, 1, v19
	s_cbranch_vccnz .LBB23_30
; %bb.29:
	s_delay_alu instid0(VALU_DEP_2)
	v_mad_u64_u32 v[4:5], null, v22, s3, v[2:3]
	s_cbranch_execz .LBB23_31
	s_branch .LBB23_32
.LBB23_30:
                                        ; implicit-def: $vgpr4
.LBB23_31:
	v_add_nc_u32_e32 v4, 2, v14
.LBB23_32:
	v_cmp_ne_u32_e32 vcc_lo, 1, v20
	v_dual_mov_b32 v23, 0 :: v_dual_mov_b32 v22, 0
	s_cbranch_vccnz .LBB23_34
; %bb.33:
	v_dual_mov_b32 v25, 0 :: v_dual_add_nc_u32 v24, s24, v3
	s_delay_alu instid0(VALU_DEP_1) | instskip(NEXT) | instid1(VALU_DEP_1)
	v_lshlrev_b64 v[24:25], 1, v[24:25]
	v_add_co_u32 v24, vcc_lo, s6, v24
	s_delay_alu instid0(VALU_DEP_2)
	v_add_co_ci_u32_e32 v25, vcc_lo, s7, v25, vcc_lo
	global_load_u16 v22, v[24:25], off
.LBB23_34:
	v_cmp_ne_u32_e32 vcc_lo, 1, v21
	s_cbranch_vccnz .LBB23_36
; %bb.35:
	v_dual_mov_b32 v4, 0 :: v_dual_add_nc_u32 v3, s24, v4
	s_delay_alu instid0(VALU_DEP_1) | instskip(NEXT) | instid1(VALU_DEP_1)
	v_lshlrev_b64 v[3:4], 1, v[3:4]
	v_add_co_u32 v3, vcc_lo, s12, v3
	s_delay_alu instid0(VALU_DEP_2)
	v_add_co_ci_u32_e32 v4, vcc_lo, s13, v4, vcc_lo
	global_load_u16 v23, v[3:4], off
.LBB23_36:
	v_cmp_ne_u32_e32 vcc_lo, 1, v18
	s_cbranch_vccnz .LBB23_38
; %bb.37:
	v_add_nc_u32_e32 v3, 3, v15
	v_add_nc_u32_e32 v13, 3, v13
	s_cbranch_execz .LBB23_39
	s_branch .LBB23_40
.LBB23_38:
                                        ; implicit-def: $vgpr3
	v_add_nc_u32_e32 v13, 3, v13
.LBB23_39:
	s_delay_alu instid0(VALU_DEP_1)
	v_mad_u64_u32 v[3:4], null, v13, s2, v[2:3]
.LBB23_40:
	v_cmp_ne_u32_e32 vcc_lo, 1, v19
	s_cbranch_vccnz .LBB23_42
; %bb.41:
	s_delay_alu instid0(VALU_DEP_2)
	v_mad_u64_u32 v[4:5], null, v13, s3, v[2:3]
	s_cbranch_execz .LBB23_43
	s_branch .LBB23_44
.LBB23_42:
                                        ; implicit-def: $vgpr4
.LBB23_43:
	v_add_nc_u32_e32 v4, 3, v14
.LBB23_44:
	v_cmp_ne_u32_e32 vcc_lo, 1, v20
	v_dual_mov_b32 v14, 0 :: v_dual_mov_b32 v13, 0
	s_cbranch_vccnz .LBB23_46
; %bb.45:
	v_dual_mov_b32 v19, 0 :: v_dual_add_nc_u32 v18, s24, v3
	s_delay_alu instid0(VALU_DEP_1) | instskip(NEXT) | instid1(VALU_DEP_1)
	v_lshlrev_b64 v[18:19], 1, v[18:19]
	v_add_co_u32 v18, vcc_lo, s6, v18
	s_delay_alu instid0(VALU_DEP_2)
	v_add_co_ci_u32_e32 v19, vcc_lo, s7, v19, vcc_lo
	global_load_u16 v13, v[18:19], off
.LBB23_46:
	v_cmp_ne_u32_e32 vcc_lo, 1, v21
	s_cbranch_vccnz .LBB23_48
; %bb.47:
	v_dual_mov_b32 v4, 0 :: v_dual_add_nc_u32 v3, s24, v4
	s_delay_alu instid0(VALU_DEP_1) | instskip(NEXT) | instid1(VALU_DEP_1)
	v_lshlrev_b64 v[3:4], 1, v[3:4]
	v_add_co_u32 v3, vcc_lo, s12, v3
	s_delay_alu instid0(VALU_DEP_2)
	v_add_co_ci_u32_e32 v4, vcc_lo, s13, v4, vcc_lo
	global_load_u16 v14, v[3:4], off
.LBB23_48:
	s_waitcnt vmcnt(0)
	v_mul_f16_e32 v4, v10, v12
	v_mul_f16_e32 v5, v10, v17
	;; [unrolled: 1-line block ×4, first 2 shown]
	s_mov_b32 s0, exec_lo
	v_fmac_f16_e32 v4, v8, v11
	v_fmac_f16_e32 v5, v8, v16
	;; [unrolled: 1-line block ×4, first 2 shown]
	v_cmpx_ge_u32_e64 s1, v9
	s_xor_b32 s0, exec_lo, s0
	s_cbranch_execz .LBB23_50
; %bb.49:
	v_mul_lo_u32 v2, v2, s8
	s_delay_alu instid0(VALU_DEP_1) | instskip(NEXT) | instid1(VALU_DEP_1)
	v_add3_u32 v2, v1, s24, v2
	v_sub_nc_u32_e32 v0, v2, v0
	s_delay_alu instid0(VALU_DEP_1) | instskip(NEXT) | instid1(VALU_DEP_1)
	v_dual_mov_b32 v1, 0 :: v_dual_add_nc_u32 v6, 1, v0
	v_dual_mov_b32 v7, v1 :: v_dual_add_nc_u32 v8, 2, v0
	v_lshlrev_b64 v[11:12], 1, v[0:1]
	v_dual_mov_b32 v9, v1 :: v_dual_add_nc_u32 v0, 3, v0
	s_delay_alu instid0(VALU_DEP_3) | instskip(NEXT) | instid1(VALU_DEP_2)
	v_lshlrev_b64 v[6:7], 1, v[6:7]
	v_lshlrev_b64 v[8:9], 1, v[8:9]
	s_delay_alu instid0(VALU_DEP_4)
	v_add_co_u32 v11, vcc_lo, s4, v11
	v_add_co_ci_u32_e32 v12, vcc_lo, s5, v12, vcc_lo
	v_lshlrev_b64 v[0:1], 1, v[0:1]
	v_add_co_u32 v6, vcc_lo, s4, v6
	v_add_co_ci_u32_e32 v7, vcc_lo, s5, v7, vcc_lo
	v_add_co_u32 v8, vcc_lo, s4, v8
	v_add_co_ci_u32_e32 v9, vcc_lo, s5, v9, vcc_lo
	;; [unrolled: 2-line block ×3, first 2 shown]
	s_clause 0x3
	global_store_b16 v[11:12], v4, off
	global_store_b16 v[6:7], v5, off
	global_store_b16 v[8:9], v3, off
	global_store_b16 v[0:1], v10, off
                                        ; implicit-def: $vgpr6
                                        ; implicit-def: $vgpr7
                                        ; implicit-def: $vgpr1
                                        ; implicit-def: $vgpr9
                                        ; implicit-def: $vgpr0
                                        ; implicit-def: $vgpr4
                                        ; implicit-def: $vgpr5
                                        ; implicit-def: $vgpr3
                                        ; implicit-def: $vgpr10
.LBB23_50:
	s_and_not1_saveexec_b32 s0, s0
	s_cbranch_execz .LBB23_54
; %bb.51:
	v_cmp_gt_u32_e32 vcc_lo, 4, v0
	s_and_b32 exec_lo, exec_lo, vcc_lo
	s_cbranch_execz .LBB23_54
; %bb.52:
	v_lshl_or_b32 v2, s21, 4, v6
	s_lshl_b32 s0, s14, 4
	v_min_u32_e32 v6, s1, v9
	s_add_i32 s11, s11, s24
	v_perm_b32 v3, v10, v3, 0x5040100
	v_subrev_nc_u32_e32 v2, s0, v2
	s_mov_b32 s2, 0
	v_sub_nc_u32_e32 v6, v1, v6
	v_mov_b32_e32 v1, 0
	s_delay_alu instid0(VALU_DEP_3) | instskip(NEXT) | instid1(VALU_DEP_3)
	v_mul_lo_u32 v2, s8, v2
	v_add_nc_u32_e32 v6, 3, v6
	s_delay_alu instid0(VALU_DEP_2) | instskip(SKIP_2) | instid1(VALU_DEP_3)
	v_add3_u32 v7, s11, v2, v7
	v_perm_b32 v2, v5, v4, 0x5040100
	v_dual_mov_b32 v5, v1 :: v_dual_mov_b32 v4, v0
	v_mov_b32_e32 v0, v7
	.p2align	6
.LBB23_53:                              ; =>This Inner Loop Header: Depth=1
	s_delay_alu instid0(VALU_DEP_1) | instskip(SKIP_1) | instid1(VALU_DEP_4)
	v_lshlrev_b64 v[7:8], 1, v[0:1]
	v_add_nc_u32_e32 v6, 1, v6
	v_lshlrev_b32_e32 v9, 4, v4
	v_add_co_u32 v4, vcc_lo, v4, 1
	v_add_nc_u32_e32 v0, 1, v0
	s_delay_alu instid0(VALU_DEP_4)
	v_cmp_lt_u32_e64 s0, 2, v6
	v_add_co_u32 v7, s1, s4, v7
	v_lshrrev_b64 v[9:10], v9, v[2:3]
	v_add_co_ci_u32_e64 v8, s1, s5, v8, s1
	v_add_co_ci_u32_e32 v5, vcc_lo, 0, v5, vcc_lo
	s_or_b32 s2, s0, s2
	global_store_b16 v[7:8], v9, off
	s_and_not1_b32 exec_lo, exec_lo, s2
	s_cbranch_execnz .LBB23_53
.LBB23_54:
	s_endpgm
	.section	.rodata,"a",@progbits
	.p2align	6, 0x0
	.amdhsa_kernel Transform_H_H_101_16_16_VW_4
		.amdhsa_group_segment_fixed_size 0
		.amdhsa_private_segment_fixed_size 64
		.amdhsa_kernarg_size 344
		.amdhsa_user_sgpr_count 14
		.amdhsa_user_sgpr_dispatch_ptr 0
		.amdhsa_user_sgpr_queue_ptr 0
		.amdhsa_user_sgpr_kernarg_segment_ptr 1
		.amdhsa_user_sgpr_dispatch_id 0
		.amdhsa_user_sgpr_private_segment_size 0
		.amdhsa_wavefront_size32 1
		.amdhsa_uses_dynamic_stack 0
		.amdhsa_enable_private_segment 1
		.amdhsa_system_sgpr_workgroup_id_x 1
		.amdhsa_system_sgpr_workgroup_id_y 0
		.amdhsa_system_sgpr_workgroup_id_z 1
		.amdhsa_system_sgpr_workgroup_info 0
		.amdhsa_system_vgpr_workitem_id 0
		.amdhsa_next_free_vgpr 42
		.amdhsa_next_free_sgpr 34
		.amdhsa_reserve_vcc 1
		.amdhsa_float_round_mode_32 0
		.amdhsa_float_round_mode_16_64 0
		.amdhsa_float_denorm_mode_32 3
		.amdhsa_float_denorm_mode_16_64 3
		.amdhsa_dx10_clamp 1
		.amdhsa_ieee_mode 1
		.amdhsa_fp16_overflow 0
		.amdhsa_workgroup_processor_mode 1
		.amdhsa_memory_ordered 1
		.amdhsa_forward_progress 0
		.amdhsa_shared_vgpr_count 0
		.amdhsa_exception_fp_ieee_invalid_op 0
		.amdhsa_exception_fp_denorm_src 0
		.amdhsa_exception_fp_ieee_div_zero 0
		.amdhsa_exception_fp_ieee_overflow 0
		.amdhsa_exception_fp_ieee_underflow 0
		.amdhsa_exception_fp_ieee_inexact 0
		.amdhsa_exception_int_div_zero 0
	.end_amdhsa_kernel
	.text
.Lfunc_end23:
	.size	Transform_H_H_101_16_16_VW_4, .Lfunc_end23-Transform_H_H_101_16_16_VW_4
                                        ; -- End function
	.section	.AMDGPU.csdata,"",@progbits
; Kernel info:
; codeLenInByte = 1776
; NumSgprs: 36
; NumVgprs: 42
; ScratchSize: 64
; MemoryBound: 0
; FloatMode: 240
; IeeeMode: 1
; LDSByteSize: 0 bytes/workgroup (compile time only)
; SGPRBlocks: 4
; VGPRBlocks: 5
; NumSGPRsForWavesPerEU: 36
; NumVGPRsForWavesPerEU: 42
; Occupancy: 16
; WaveLimiterHint : 1
; COMPUTE_PGM_RSRC2:SCRATCH_EN: 1
; COMPUTE_PGM_RSRC2:USER_SGPR: 14
; COMPUTE_PGM_RSRC2:TRAP_HANDLER: 0
; COMPUTE_PGM_RSRC2:TGID_X_EN: 1
; COMPUTE_PGM_RSRC2:TGID_Y_EN: 0
; COMPUTE_PGM_RSRC2:TGID_Z_EN: 1
; COMPUTE_PGM_RSRC2:TIDIG_COMP_CNT: 0
	.text
	.protected	Transform_H_H_100_16_16_VW_1 ; -- Begin function Transform_H_H_100_16_16_VW_1
	.globl	Transform_H_H_100_16_16_VW_1
	.p2align	8
	.type	Transform_H_H_100_16_16_VW_1,@function
Transform_H_H_100_16_16_VW_1:           ; @Transform_H_H_100_16_16_VW_1
; %bb.0:
	s_mov_b64 s[22:23], s[0:1]
	s_load_b32 s0, s[0:1], 0x64
	v_mov_b32_e32 v41, v0
	s_mov_b32 s21, s15
	s_mov_b32 s24, s14
	;; [unrolled: 1-line block ×3, first 2 shown]
	s_waitcnt lgkmcnt(0)
	v_cmp_eq_u16_e64 s0, 0x100, s0
	s_delay_alu instid0(VALU_DEP_1)
	s_and_b32 vcc_lo, exec_lo, s0
	s_mov_b32 s0, -1
	s_cbranch_vccnz .LBB24_2
; %bb.1:
	s_add_u32 s8, s22, 0x58
	s_addc_u32 s9, s23, 0
	s_getpc_b64 s[0:1]
	s_add_u32 s0, s0, __PRETTY_FUNCTION__._ZN10amd_detail9transformIDF16_DF16_Lb1ELb0ELb0ELj16ELj16ELj1EEEvPT_PKS1_S4_T0_PKS5_S5_S7_jjjjjjbb@rel32@lo+4
	s_addc_u32 s1, s1, __PRETTY_FUNCTION__._ZN10amd_detail9transformIDF16_DF16_Lb1ELb0ELb0ELj16ELj16ELj1EEEvPT_PKS1_S4_T0_PKS5_S5_S7_jjjjjjbb@rel32@hi+12
	s_delay_alu instid0(SALU_CYCLE_1) | instskip(SKIP_3) | instid1(SALU_CYCLE_1)
	v_dual_mov_b32 v0, s0 :: v_dual_mov_b32 v1, s1
	s_getpc_b64 s[2:3]
	s_add_u32 s2, s2, __assert_fail@rel32@lo+4
	s_addc_u32 s3, s3, __assert_fail@rel32@hi+12
	s_swappc_b64 s[30:31], s[2:3]
	; divergent unreachable
	s_mov_b32 s0, 0
.LBB24_2:
	s_delay_alu instid0(SALU_CYCLE_1)
	s_and_not1_b32 vcc_lo, exec_lo, s0
	s_cbranch_vccnz .LBB24_13
; %bb.3:
	s_load_b256 s[0:7], s[22:23], 0x38
	s_waitcnt lgkmcnt(0)
	s_and_b32 s7, s0, 15
	s_lshr_b32 s8, s0, 4
	s_cmp_lg_u32 s7, 0
	s_cselect_b32 s7, -1, 0
	s_delay_alu instid0(SALU_CYCLE_1)
	s_cmp_lg_u32 s7, 0
	s_addc_u32 s7, s8, 0
	s_clause 0x1
	s_load_b32 s10, s[22:23], 0x18
	s_load_b64 s[8:9], s[22:23], 0x20
	v_cvt_f32_u32_e32 v0, s7
	s_sub_i32 s12, 0, s7
	s_delay_alu instid0(VALU_DEP_1) | instskip(SKIP_2) | instid1(VALU_DEP_1)
	v_rcp_iflag_f32_e32 v0, v0
	s_waitcnt_depctr 0xfff
	v_mul_f32_e32 v0, 0x4f7ffffe, v0
	v_cvt_u32_f32_e32 v0, v0
	s_delay_alu instid0(VALU_DEP_1) | instskip(SKIP_2) | instid1(VALU_DEP_2)
	v_readfirstlane_b32 s11, v0
	s_waitcnt lgkmcnt(0)
	v_mov_b32_e32 v0, s10
	s_mul_i32 s12, s12, s11
	s_delay_alu instid0(SALU_CYCLE_1) | instskip(NEXT) | instid1(SALU_CYCLE_1)
	s_mul_hi_u32 s12, s11, s12
	s_add_i32 s11, s11, s12
	s_cmp_eq_u64 s[8:9], 0
	s_mul_hi_u32 s10, s24, s11
	s_cbranch_scc1 .LBB24_5
; %bb.4:
	v_mov_b32_e32 v0, 0
	global_load_u16 v0, v0, s[8:9]
.LBB24_5:
	s_clause 0x1
	s_load_b32 s11, s[22:23], 0x28
	s_load_b64 s[8:9], s[22:23], 0x30
	s_waitcnt lgkmcnt(0)
	v_mov_b32_e32 v1, s11
	s_cmp_eq_u64 s[8:9], 0
	s_cbranch_scc1 .LBB24_7
; %bb.6:
	v_mov_b32_e32 v1, 0
	global_load_u16 v1, v1, s[8:9]
.LBB24_7:
	s_mul_i32 s8, s10, s7
	s_add_i32 s9, s10, 1
	s_sub_i32 s8, s24, s8
	v_and_b32_e32 v2, 15, v41
	s_sub_i32 s11, s8, s7
	s_cmp_ge_u32 s8, s7
	v_lshrrev_b32_e32 v3, 4, v41
	s_cselect_b32 s9, s9, s10
	s_cselect_b32 s8, s11, s8
	s_add_i32 s10, s9, 1
	s_cmp_ge_u32 s8, s7
	s_cselect_b32 s8, s10, s9
	s_delay_alu instid0(SALU_CYCLE_1) | instskip(SKIP_2) | instid1(SALU_CYCLE_1)
	s_mul_i32 s7, s8, s7
	v_lshl_add_u32 v3, s8, 4, v3
	s_sub_i32 s7, s24, s7
	v_lshl_or_b32 v2, s7, 4, v2
	s_delay_alu instid0(VALU_DEP_1) | instskip(NEXT) | instid1(VALU_DEP_3)
	v_cmp_gt_u32_e32 vcc_lo, s0, v2
	v_cmp_gt_u32_e64 s0, s1, v3
	s_delay_alu instid0(VALU_DEP_1) | instskip(NEXT) | instid1(SALU_CYCLE_1)
	s_and_b32 s0, vcc_lo, s0
	s_and_saveexec_b32 s1, s0
	s_cbranch_execz .LBB24_13
; %bb.8:
	s_clause 0x1
	s_load_b128 s[8:11], s[22:23], 0x0
	s_load_b64 s[0:1], s[22:23], 0x10
	v_dual_mov_b32 v5, 0 :: v_dual_mov_b32 v4, 0
	s_mul_i32 s21, s21, s5
	s_waitcnt lgkmcnt(0)
	s_cmp_eq_u64 s[10:11], 0
	s_cbranch_scc1 .LBB24_10
; %bb.9:
	s_bitcmp1_b32 s6, 0
	v_mov_b32_e32 v7, 0
	s_cselect_b32 vcc_lo, -1, 0
	v_cndmask_b32_e32 v4, v2, v3, vcc_lo
	v_cndmask_b32_e32 v6, v3, v2, vcc_lo
	s_delay_alu instid0(VALU_DEP_2) | instskip(NEXT) | instid1(VALU_DEP_1)
	v_mul_lo_u32 v4, v4, s2
	v_add3_u32 v6, v6, s21, v4
	s_delay_alu instid0(VALU_DEP_1) | instskip(NEXT) | instid1(VALU_DEP_1)
	v_lshlrev_b64 v[6:7], 1, v[6:7]
	v_add_co_u32 v6, vcc_lo, s10, v6
	s_delay_alu instid0(VALU_DEP_2)
	v_add_co_ci_u32_e32 v7, vcc_lo, s11, v7, vcc_lo
	global_load_u16 v4, v[6:7], off
.LBB24_10:
	s_cmp_eq_u64 s[0:1], 0
	s_cbranch_scc1 .LBB24_12
; %bb.11:
	s_load_b32 s2, s[22:23], 0x50
	v_mov_b32_e32 v6, 0
	s_waitcnt lgkmcnt(0)
	s_bitcmp1_b32 s2, 8
	s_cselect_b32 vcc_lo, -1, 0
	v_cndmask_b32_e32 v5, v3, v2, vcc_lo
	v_cndmask_b32_e32 v7, v2, v3, vcc_lo
	s_delay_alu instid0(VALU_DEP_2) | instskip(NEXT) | instid1(VALU_DEP_1)
	v_mul_lo_u32 v5, v5, s3
	v_add3_u32 v5, v7, s21, v5
	s_delay_alu instid0(VALU_DEP_1) | instskip(NEXT) | instid1(VALU_DEP_1)
	v_lshlrev_b64 v[5:6], 1, v[5:6]
	v_add_co_u32 v5, vcc_lo, s0, v5
	s_delay_alu instid0(VALU_DEP_2)
	v_add_co_ci_u32_e32 v6, vcc_lo, s1, v6, vcc_lo
	global_load_u16 v5, v[5:6], off
.LBB24_12:
	v_mul_lo_u32 v6, v3, s4
	v_mov_b32_e32 v3, 0
	s_waitcnt vmcnt(0)
	v_mul_f16_e32 v5, v1, v5
	s_delay_alu instid0(VALU_DEP_1) | instskip(NEXT) | instid1(VALU_DEP_4)
	v_fmac_f16_e32 v5, v0, v4
	v_add3_u32 v2, v2, s21, v6
	s_delay_alu instid0(VALU_DEP_1) | instskip(NEXT) | instid1(VALU_DEP_1)
	v_lshlrev_b64 v[1:2], 1, v[2:3]
	v_add_co_u32 v0, vcc_lo, s8, v1
	s_delay_alu instid0(VALU_DEP_2)
	v_add_co_ci_u32_e32 v1, vcc_lo, s9, v2, vcc_lo
	global_store_b16 v[0:1], v5, off
.LBB24_13:
	s_endpgm
	.section	.rodata,"a",@progbits
	.p2align	6, 0x0
	.amdhsa_kernel Transform_H_H_100_16_16_VW_1
		.amdhsa_group_segment_fixed_size 0
		.amdhsa_private_segment_fixed_size 64
		.amdhsa_kernarg_size 344
		.amdhsa_user_sgpr_count 14
		.amdhsa_user_sgpr_dispatch_ptr 0
		.amdhsa_user_sgpr_queue_ptr 0
		.amdhsa_user_sgpr_kernarg_segment_ptr 1
		.amdhsa_user_sgpr_dispatch_id 0
		.amdhsa_user_sgpr_private_segment_size 0
		.amdhsa_wavefront_size32 1
		.amdhsa_uses_dynamic_stack 0
		.amdhsa_enable_private_segment 1
		.amdhsa_system_sgpr_workgroup_id_x 1
		.amdhsa_system_sgpr_workgroup_id_y 0
		.amdhsa_system_sgpr_workgroup_id_z 1
		.amdhsa_system_sgpr_workgroup_info 0
		.amdhsa_system_vgpr_workitem_id 0
		.amdhsa_next_free_vgpr 42
		.amdhsa_next_free_sgpr 34
		.amdhsa_reserve_vcc 1
		.amdhsa_float_round_mode_32 0
		.amdhsa_float_round_mode_16_64 0
		.amdhsa_float_denorm_mode_32 3
		.amdhsa_float_denorm_mode_16_64 3
		.amdhsa_dx10_clamp 1
		.amdhsa_ieee_mode 1
		.amdhsa_fp16_overflow 0
		.amdhsa_workgroup_processor_mode 1
		.amdhsa_memory_ordered 1
		.amdhsa_forward_progress 0
		.amdhsa_shared_vgpr_count 0
		.amdhsa_exception_fp_ieee_invalid_op 0
		.amdhsa_exception_fp_denorm_src 0
		.amdhsa_exception_fp_ieee_div_zero 0
		.amdhsa_exception_fp_ieee_overflow 0
		.amdhsa_exception_fp_ieee_underflow 0
		.amdhsa_exception_fp_ieee_inexact 0
		.amdhsa_exception_int_div_zero 0
	.end_amdhsa_kernel
	.text
.Lfunc_end24:
	.size	Transform_H_H_100_16_16_VW_1, .Lfunc_end24-Transform_H_H_100_16_16_VW_1
                                        ; -- End function
	.section	.AMDGPU.csdata,"",@progbits
; Kernel info:
; codeLenInByte = 740
; NumSgprs: 36
; NumVgprs: 42
; ScratchSize: 64
; MemoryBound: 0
; FloatMode: 240
; IeeeMode: 1
; LDSByteSize: 0 bytes/workgroup (compile time only)
; SGPRBlocks: 4
; VGPRBlocks: 5
; NumSGPRsForWavesPerEU: 36
; NumVGPRsForWavesPerEU: 42
; Occupancy: 16
; WaveLimiterHint : 1
; COMPUTE_PGM_RSRC2:SCRATCH_EN: 1
; COMPUTE_PGM_RSRC2:USER_SGPR: 14
; COMPUTE_PGM_RSRC2:TRAP_HANDLER: 0
; COMPUTE_PGM_RSRC2:TGID_X_EN: 1
; COMPUTE_PGM_RSRC2:TGID_Y_EN: 0
; COMPUTE_PGM_RSRC2:TGID_Z_EN: 1
; COMPUTE_PGM_RSRC2:TIDIG_COMP_CNT: 0
	.text
	.protected	Transform_H_H_100_16_16_VW_4 ; -- Begin function Transform_H_H_100_16_16_VW_4
	.globl	Transform_H_H_100_16_16_VW_4
	.p2align	8
	.type	Transform_H_H_100_16_16_VW_4,@function
Transform_H_H_100_16_16_VW_4:           ; @Transform_H_H_100_16_16_VW_4
; %bb.0:
	s_mov_b64 s[22:23], s[0:1]
	s_load_b32 s0, s[0:1], 0x64
	v_mov_b32_e32 v41, v0
	s_mov_b32 s24, s15
	s_mov_b32 s21, s14
	;; [unrolled: 1-line block ×3, first 2 shown]
	s_waitcnt lgkmcnt(0)
	v_cmp_eq_u16_e64 s0, 0x100, s0
	s_delay_alu instid0(VALU_DEP_1)
	s_and_b32 vcc_lo, exec_lo, s0
	s_mov_b32 s0, -1
	s_cbranch_vccnz .LBB25_2
; %bb.1:
	s_add_u32 s8, s22, 0x58
	s_addc_u32 s9, s23, 0
	s_getpc_b64 s[0:1]
	s_add_u32 s0, s0, __PRETTY_FUNCTION__._ZN10amd_detail9transformIDF16_DF16_Lb1ELb0ELb0ELj16ELj16ELj4EEEvPT_PKS1_S4_T0_PKS5_S5_S7_jjjjjjbb@rel32@lo+4
	s_addc_u32 s1, s1, __PRETTY_FUNCTION__._ZN10amd_detail9transformIDF16_DF16_Lb1ELb0ELb0ELj16ELj16ELj4EEEvPT_PKS1_S4_T0_PKS5_S5_S7_jjjjjjbb@rel32@hi+12
	s_delay_alu instid0(SALU_CYCLE_1) | instskip(SKIP_3) | instid1(SALU_CYCLE_1)
	v_dual_mov_b32 v0, s0 :: v_dual_mov_b32 v1, s1
	s_getpc_b64 s[2:3]
	s_add_u32 s2, s2, __assert_fail@rel32@lo+4
	s_addc_u32 s3, s3, __assert_fail@rel32@hi+12
	s_swappc_b64 s[30:31], s[2:3]
	; divergent unreachable
	s_mov_b32 s0, 0
.LBB25_2:
	s_delay_alu instid0(SALU_CYCLE_1)
	s_and_not1_b32 vcc_lo, exec_lo, s0
	s_cbranch_vccnz .LBB25_54
; %bb.3:
	s_load_b256 s[4:11], s[22:23], 0x38
	s_waitcnt lgkmcnt(0)
	s_and_b32 s0, s4, 63
	s_lshr_b32 s1, s4, 6
	s_cmp_lg_u32 s0, 0
	s_cselect_b32 s0, -1, 0
	s_delay_alu instid0(SALU_CYCLE_1)
	s_cmp_lg_u32 s0, 0
	s_addc_u32 s2, s1, 0
	s_clause 0x1
	s_load_b32 s3, s[22:23], 0x18
	s_load_b64 s[0:1], s[22:23], 0x20
	v_cvt_f32_u32_e32 v0, s2
	s_sub_i32 s12, 0, s2
	s_delay_alu instid0(VALU_DEP_1) | instskip(SKIP_3) | instid1(VALU_DEP_1)
	v_rcp_iflag_f32_e32 v0, v0
	s_waitcnt lgkmcnt(0)
	s_waitcnt_depctr 0xfff
	v_dual_mul_f32 v0, 0x4f7ffffe, v0 :: v_dual_mov_b32 v7, s3
	v_cvt_u32_f32_e32 v0, v0
	s_delay_alu instid0(VALU_DEP_1) | instskip(NEXT) | instid1(VALU_DEP_1)
	v_readfirstlane_b32 s11, v0
	s_mul_i32 s12, s12, s11
	s_delay_alu instid0(SALU_CYCLE_1) | instskip(NEXT) | instid1(SALU_CYCLE_1)
	s_mul_hi_u32 s12, s11, s12
	s_add_i32 s11, s11, s12
	s_cmp_eq_u64 s[0:1], 0
	s_mul_hi_u32 s3, s21, s11
	s_cbranch_scc1 .LBB25_5
; %bb.4:
	v_mov_b32_e32 v0, 0
	global_load_u16 v7, v0, s[0:1]
.LBB25_5:
	s_clause 0x1
	s_load_b32 s11, s[22:23], 0x28
	s_load_b64 s[0:1], s[22:23], 0x30
	s_waitcnt lgkmcnt(0)
	v_mov_b32_e32 v10, s11
	s_cmp_eq_u64 s[0:1], 0
	s_cbranch_scc1 .LBB25_7
; %bb.6:
	v_mov_b32_e32 v0, 0
	global_load_u16 v10, v0, s[0:1]
.LBB25_7:
	s_mul_i32 s0, s3, s2
	s_add_i32 s1, s3, 1
	s_sub_i32 s0, s21, s0
	v_lshrrev_b32_e32 v0, 4, v41
	s_sub_i32 s11, s0, s2
	s_cmp_ge_u32 s0, s2
	s_cselect_b32 s1, s1, s3
	s_cselect_b32 s0, s11, s0
	s_add_i32 s3, s1, 1
	s_cmp_ge_u32 s0, s2
	s_mov_b32 s0, exec_lo
	s_cselect_b32 s1, s3, s1
	s_delay_alu instid0(SALU_CYCLE_1) | instskip(NEXT) | instid1(VALU_DEP_1)
	v_lshl_add_u32 v0, s1, 4, v0
	v_cmpx_gt_u32_e64 s5, v0
	s_cbranch_execz .LBB25_54
; %bb.8:
	v_dual_mov_b32 v14, 0 :: v_dual_lshlrev_b32 v1, 2, v41
	s_mul_i32 s1, s1, s2
	s_clause 0x1
	s_load_b128 s[12:15], s[22:23], 0x0
	s_load_b64 s[2:3], s[22:23], 0x10
	v_dual_mov_b32 v13, 0 :: v_dual_and_b32 v8, 60, v1
	s_sub_i32 s0, s21, s1
	s_bitcmp1_b32 s10, 0
	s_mul_i32 s24, s24, s9
	s_delay_alu instid0(VALU_DEP_1) | instskip(SKIP_1) | instid1(VALU_DEP_1)
	v_lshl_or_b32 v11, s0, 6, v8
	s_cselect_b32 vcc_lo, -1, 0
	v_add_nc_u32_e32 v12, 4, v11
	s_delay_alu instid0(VALU_DEP_1) | instskip(SKIP_3) | instid1(VALU_DEP_1)
	v_sub_nc_u32_e64 v9, v12, s4 clamp
	s_waitcnt lgkmcnt(0)
	s_cmp_lg_u64 s[14:15], 0
	s_cselect_b32 s5, -1, 0
	v_sub_nc_u32_e32 v3, v11, v9
	s_cmp_eq_u64 s[14:15], 0
	s_delay_alu instid0(VALU_DEP_1)
	v_mad_u64_u32 v[1:2], null, v0, s6, v[3:4]
	s_cbranch_scc1 .LBB25_10
; %bb.9:
	s_delay_alu instid0(VALU_DEP_1) | instskip(NEXT) | instid1(VALU_DEP_1)
	v_mad_u64_u32 v[4:5], null, v3, s6, v[0:1]
	v_dual_mov_b32 v5, 0 :: v_dual_cndmask_b32 v2, v4, v1
	s_delay_alu instid0(VALU_DEP_1) | instskip(NEXT) | instid1(VALU_DEP_1)
	v_add_nc_u32_e32 v4, s24, v2
	v_lshlrev_b64 v[4:5], 1, v[4:5]
	s_delay_alu instid0(VALU_DEP_1) | instskip(NEXT) | instid1(VALU_DEP_1)
	v_add_co_u32 v4, s0, s14, v4
	v_add_co_ci_u32_e64 v5, s0, s15, v5, s0
	global_load_u16 v13, v[4:5], off
.LBB25_10:
	s_load_b32 s0, s[22:23], 0x50
	v_mad_u64_u32 v[4:5], null, v0, s7, v[3:4]
	v_mul_lo_u32 v15, v3, s7
	s_xor_b32 s10, vcc_lo, -1
	s_waitcnt lgkmcnt(0)
	s_bitcmp1_b32 s0, 8
	s_cselect_b32 s0, -1, 0
	s_cmp_lg_u64 s[2:3], 0
	s_cselect_b32 s9, -1, 0
	s_cmp_eq_u64 s[2:3], 0
	s_cbranch_scc1 .LBB25_12
; %bb.11:
	v_add_nc_u32_e32 v2, v15, v0
	s_delay_alu instid0(VALU_DEP_1) | instskip(NEXT) | instid1(VALU_DEP_1)
	v_cndmask_b32_e64 v2, v4, v2, s0
	v_dual_mov_b32 v6, 0 :: v_dual_add_nc_u32 v5, s24, v2
	s_delay_alu instid0(VALU_DEP_1) | instskip(NEXT) | instid1(VALU_DEP_1)
	v_lshlrev_b64 v[5:6], 1, v[5:6]
	v_add_co_u32 v5, vcc_lo, s2, v5
	s_delay_alu instid0(VALU_DEP_2)
	v_add_co_ci_u32_e32 v6, vcc_lo, s3, v6, vcc_lo
	global_load_u16 v14, v[5:6], off
.LBB25_12:
	v_cndmask_b32_e64 v2, 0, 1, s10
	s_and_not1_b32 vcc_lo, exec_lo, s10
	s_cbranch_vccnz .LBB25_14
; %bb.13:
	v_mul_lo_u32 v5, s6, v3
	s_delay_alu instid0(VALU_DEP_1)
	v_add3_u32 v5, v5, s6, v0
	s_xor_b32 s0, s0, -1
	s_cbranch_execz .LBB25_15
	s_branch .LBB25_16
.LBB25_14:
                                        ; implicit-def: $vgpr5
	s_xor_b32 s0, s0, -1
.LBB25_15:
	v_add_nc_u32_e32 v5, 1, v1
.LBB25_16:
	v_cndmask_b32_e64 v18, 0, 1, s0
	s_and_not1_b32 vcc_lo, exec_lo, s0
	s_cbranch_vccnz .LBB25_18
; %bb.17:
	v_add_nc_u32_e32 v6, 1, v4
	s_cbranch_execz .LBB25_19
	s_branch .LBB25_20
.LBB25_18:
                                        ; implicit-def: $vgpr6
.LBB25_19:
	v_add3_u32 v6, v15, s7, v0
.LBB25_20:
	v_cndmask_b32_e64 v19, 0, 1, s5
	v_dual_mov_b32 v17, 0 :: v_dual_mov_b32 v16, 0
	s_and_not1_b32 vcc_lo, exec_lo, s5
	s_cbranch_vccnz .LBB25_22
; %bb.21:
	v_dual_mov_b32 v21, 0 :: v_dual_add_nc_u32 v20, s24, v5
	s_delay_alu instid0(VALU_DEP_1) | instskip(NEXT) | instid1(VALU_DEP_1)
	v_lshlrev_b64 v[20:21], 1, v[20:21]
	v_add_co_u32 v20, vcc_lo, s14, v20
	s_delay_alu instid0(VALU_DEP_2)
	v_add_co_ci_u32_e32 v21, vcc_lo, s15, v21, vcc_lo
	global_load_u16 v16, v[20:21], off
.LBB25_22:
	v_cndmask_b32_e64 v20, 0, 1, s9
	s_and_not1_b32 vcc_lo, exec_lo, s9
	s_cbranch_vccnz .LBB25_24
; %bb.23:
	v_dual_mov_b32 v6, 0 :: v_dual_add_nc_u32 v5, s24, v6
	s_delay_alu instid0(VALU_DEP_1) | instskip(NEXT) | instid1(VALU_DEP_1)
	v_lshlrev_b64 v[5:6], 1, v[5:6]
	v_add_co_u32 v5, vcc_lo, s2, v5
	s_delay_alu instid0(VALU_DEP_2)
	v_add_co_ci_u32_e32 v6, vcc_lo, s3, v6, vcc_lo
	global_load_u16 v17, v[5:6], off
.LBB25_24:
	v_cmp_ne_u32_e32 vcc_lo, 1, v2
	s_cbranch_vccnz .LBB25_26
; %bb.25:
	v_add_nc_u32_e32 v21, 2, v3
	s_delay_alu instid0(VALU_DEP_1)
	v_mad_u64_u32 v[5:6], null, v21, s6, v[0:1]
	s_cbranch_execz .LBB25_27
	s_branch .LBB25_28
.LBB25_26:
                                        ; implicit-def: $vgpr5
.LBB25_27:
	v_add_nc_u32_e32 v5, 2, v1
.LBB25_28:
	v_cmp_ne_u32_e32 vcc_lo, 1, v18
	s_cbranch_vccnz .LBB25_30
; %bb.29:
	v_add_nc_u32_e32 v22, 2, v4
	s_cbranch_execz .LBB25_31
	s_branch .LBB25_32
.LBB25_30:
                                        ; implicit-def: $vgpr22
.LBB25_31:
	s_lshl_b32 s0, s7, 1
	s_delay_alu instid0(SALU_CYCLE_1)
	v_add3_u32 v22, v15, s0, v0
.LBB25_32:
	v_cmp_ne_u32_e32 vcc_lo, 1, v19
	v_dual_mov_b32 v21, 0 :: v_dual_mov_b32 v6, 0
	s_cbranch_vccnz .LBB25_34
; %bb.33:
	v_dual_mov_b32 v6, 0 :: v_dual_add_nc_u32 v5, s24, v5
	s_delay_alu instid0(VALU_DEP_1) | instskip(NEXT) | instid1(VALU_DEP_1)
	v_lshlrev_b64 v[5:6], 1, v[5:6]
	v_add_co_u32 v5, vcc_lo, s14, v5
	s_delay_alu instid0(VALU_DEP_2)
	v_add_co_ci_u32_e32 v6, vcc_lo, s15, v6, vcc_lo
	global_load_u16 v6, v[5:6], off
.LBB25_34:
	v_cmp_ne_u32_e32 vcc_lo, 1, v20
	s_cbranch_vccnz .LBB25_36
; %bb.35:
	v_dual_mov_b32 v22, 0 :: v_dual_add_nc_u32 v21, s24, v22
	s_delay_alu instid0(VALU_DEP_1) | instskip(NEXT) | instid1(VALU_DEP_1)
	v_lshlrev_b64 v[21:22], 1, v[21:22]
	v_add_co_u32 v21, vcc_lo, s2, v21
	s_delay_alu instid0(VALU_DEP_2)
	v_add_co_ci_u32_e32 v22, vcc_lo, s3, v22, vcc_lo
	global_load_u16 v21, v[21:22], off
.LBB25_36:
	v_cmp_ne_u32_e32 vcc_lo, 1, v2
	s_cbranch_vccnz .LBB25_38
; %bb.37:
	v_add_nc_u32_e32 v5, 3, v3
	s_delay_alu instid0(VALU_DEP_1)
	v_mad_u64_u32 v[2:3], null, v5, s6, v[0:1]
	s_cbranch_execz .LBB25_39
	s_branch .LBB25_40
.LBB25_38:
                                        ; implicit-def: $vgpr2
.LBB25_39:
	v_add_nc_u32_e32 v2, 3, v1
.LBB25_40:
	v_cmp_ne_u32_e32 vcc_lo, 1, v18
	s_cbranch_vccnz .LBB25_42
; %bb.41:
	v_add_nc_u32_e32 v1, 3, v4
	s_cbranch_execz .LBB25_43
	s_branch .LBB25_44
.LBB25_42:
                                        ; implicit-def: $vgpr1
.LBB25_43:
	s_mul_i32 s0, s7, 3
	s_delay_alu instid0(SALU_CYCLE_1)
	v_add3_u32 v1, v15, s0, v0
.LBB25_44:
	v_cmp_ne_u32_e32 vcc_lo, 1, v19
	v_mov_b32_e32 v3, 0
	v_mov_b32_e32 v15, 0
	s_cbranch_vccnz .LBB25_46
; %bb.45:
	v_dual_mov_b32 v5, 0 :: v_dual_add_nc_u32 v4, s24, v2
	s_delay_alu instid0(VALU_DEP_1) | instskip(NEXT) | instid1(VALU_DEP_1)
	v_lshlrev_b64 v[4:5], 1, v[4:5]
	v_add_co_u32 v4, vcc_lo, s14, v4
	s_delay_alu instid0(VALU_DEP_2)
	v_add_co_ci_u32_e32 v5, vcc_lo, s15, v5, vcc_lo
	global_load_u16 v15, v[4:5], off
.LBB25_46:
	v_cmp_ne_u32_e32 vcc_lo, 1, v20
	s_cbranch_vccnz .LBB25_48
; %bb.47:
	v_dual_mov_b32 v2, 0 :: v_dual_add_nc_u32 v1, s24, v1
	s_delay_alu instid0(VALU_DEP_1) | instskip(NEXT) | instid1(VALU_DEP_1)
	v_lshlrev_b64 v[1:2], 1, v[1:2]
	v_add_co_u32 v1, vcc_lo, s2, v1
	s_delay_alu instid0(VALU_DEP_2)
	v_add_co_ci_u32_e32 v2, vcc_lo, s3, v2, vcc_lo
	global_load_u16 v3, v[1:2], off
.LBB25_48:
	s_waitcnt vmcnt(0)
	v_mul_f16_e32 v2, v10, v14
	v_mul_f16_e32 v4, v10, v17
	;; [unrolled: 1-line block ×4, first 2 shown]
	v_mul_lo_u32 v0, v0, s8
	v_fmac_f16_e32 v2, v7, v13
	v_fmac_f16_e32 v4, v7, v16
	;; [unrolled: 1-line block ×4, first 2 shown]
	s_mov_b32 s0, exec_lo
	v_cmpx_ge_u32_e64 s4, v12
	s_xor_b32 s0, exec_lo, s0
	s_cbranch_execz .LBB25_50
; %bb.49:
	v_add_nc_u32_e32 v1, s24, v11
	s_delay_alu instid0(VALU_DEP_1) | instskip(NEXT) | instid1(VALU_DEP_1)
	v_sub_nc_u32_e32 v6, v1, v9
	v_dual_mov_b32 v1, 0 :: v_dual_add_nc_u32 v0, v6, v0
	s_delay_alu instid0(VALU_DEP_1) | instskip(NEXT) | instid1(VALU_DEP_2)
	v_mov_b32_e32 v7, v1
	v_dual_mov_b32 v9, v1 :: v_dual_add_nc_u32 v8, 2, v0
	v_add_nc_u32_e32 v6, 1, v0
	v_lshlrev_b64 v[10:11], 1, v[0:1]
	v_add_nc_u32_e32 v0, 3, v0
	s_delay_alu instid0(VALU_DEP_4) | instskip(NEXT) | instid1(VALU_DEP_4)
	v_lshlrev_b64 v[8:9], 1, v[8:9]
	v_lshlrev_b64 v[6:7], 1, v[6:7]
	s_delay_alu instid0(VALU_DEP_4) | instskip(SKIP_2) | instid1(VALU_DEP_4)
	v_add_co_u32 v10, vcc_lo, s12, v10
	v_add_co_ci_u32_e32 v11, vcc_lo, s13, v11, vcc_lo
	v_lshlrev_b64 v[0:1], 1, v[0:1]
	v_add_co_u32 v6, vcc_lo, s12, v6
	v_add_co_ci_u32_e32 v7, vcc_lo, s13, v7, vcc_lo
	v_add_co_u32 v8, vcc_lo, s12, v8
	v_add_co_ci_u32_e32 v9, vcc_lo, s13, v9, vcc_lo
	;; [unrolled: 2-line block ×3, first 2 shown]
	s_clause 0x3
	global_store_b16 v[10:11], v2, off
	global_store_b16 v[6:7], v4, off
	;; [unrolled: 1-line block ×4, first 2 shown]
                                        ; implicit-def: $vgpr9
                                        ; implicit-def: $vgpr3
                                        ; implicit-def: $vgpr5
                                        ; implicit-def: $vgpr4
                                        ; implicit-def: $vgpr2
                                        ; implicit-def: $vgpr8
                                        ; implicit-def: $vgpr0
.LBB25_50:
	s_and_not1_saveexec_b32 s0, s0
	s_cbranch_execz .LBB25_54
; %bb.51:
	v_cmp_gt_u32_e32 vcc_lo, 4, v9
	s_and_b32 exec_lo, exec_lo, vcc_lo
	s_cbranch_execz .LBB25_54
; %bb.52:
	v_lshl_or_b32 v1, s21, 6, v8
	s_lshl_b32 s0, s1, 6
	v_perm_b32 v3, v3, v5, 0x5040100
	v_perm_b32 v2, v4, v2, 0x5040100
	s_mov_b32 s2, 0
	v_subrev_nc_u32_e32 v6, s0, v1
	v_add3_u32 v9, s24, v0, v1
	v_mov_b32_e32 v1, 0
	s_delay_alu instid0(VALU_DEP_3) | instskip(NEXT) | instid1(VALU_DEP_1)
	v_add_nc_u32_e32 v7, 4, v6
	v_min_u32_e32 v8, s4, v7
	s_delay_alu instid0(VALU_DEP_1) | instskip(SKIP_2) | instid1(VALU_DEP_3)
	v_sub_nc_u32_e32 v6, v6, v8
	v_sub_nc_u32_e32 v0, v7, v8
	v_subrev_nc_u32_e32 v7, s0, v9
	v_dual_mov_b32 v5, v1 :: v_dual_add_nc_u32 v6, 3, v6
	s_delay_alu instid0(VALU_DEP_3) | instskip(NEXT) | instid1(VALU_DEP_3)
	v_mov_b32_e32 v4, v0
	v_mov_b32_e32 v0, v7
	.p2align	6
.LBB25_53:                              ; =>This Inner Loop Header: Depth=1
	s_delay_alu instid0(VALU_DEP_1) | instskip(NEXT) | instid1(VALU_DEP_4)
	v_lshlrev_b64 v[7:8], 1, v[0:1]
	v_add_nc_u32_e32 v6, 1, v6
	s_delay_alu instid0(VALU_DEP_4) | instskip(SKIP_2) | instid1(VALU_DEP_4)
	v_lshlrev_b32_e32 v9, 4, v4
	v_add_co_u32 v4, vcc_lo, v4, 1
	v_add_nc_u32_e32 v0, 1, v0
	v_cmp_lt_u32_e64 s0, 2, v6
	v_add_co_u32 v7, s1, s12, v7
	v_lshrrev_b64 v[9:10], v9, v[2:3]
	v_add_co_ci_u32_e64 v8, s1, s13, v8, s1
	v_add_co_ci_u32_e32 v5, vcc_lo, 0, v5, vcc_lo
	s_or_b32 s2, s0, s2
	global_store_b16 v[7:8], v9, off
	s_and_not1_b32 exec_lo, exec_lo, s2
	s_cbranch_execnz .LBB25_53
.LBB25_54:
	s_endpgm
	.section	.rodata,"a",@progbits
	.p2align	6, 0x0
	.amdhsa_kernel Transform_H_H_100_16_16_VW_4
		.amdhsa_group_segment_fixed_size 0
		.amdhsa_private_segment_fixed_size 64
		.amdhsa_kernarg_size 344
		.amdhsa_user_sgpr_count 14
		.amdhsa_user_sgpr_dispatch_ptr 0
		.amdhsa_user_sgpr_queue_ptr 0
		.amdhsa_user_sgpr_kernarg_segment_ptr 1
		.amdhsa_user_sgpr_dispatch_id 0
		.amdhsa_user_sgpr_private_segment_size 0
		.amdhsa_wavefront_size32 1
		.amdhsa_uses_dynamic_stack 0
		.amdhsa_enable_private_segment 1
		.amdhsa_system_sgpr_workgroup_id_x 1
		.amdhsa_system_sgpr_workgroup_id_y 0
		.amdhsa_system_sgpr_workgroup_id_z 1
		.amdhsa_system_sgpr_workgroup_info 0
		.amdhsa_system_vgpr_workitem_id 0
		.amdhsa_next_free_vgpr 42
		.amdhsa_next_free_sgpr 34
		.amdhsa_reserve_vcc 1
		.amdhsa_float_round_mode_32 0
		.amdhsa_float_round_mode_16_64 0
		.amdhsa_float_denorm_mode_32 3
		.amdhsa_float_denorm_mode_16_64 3
		.amdhsa_dx10_clamp 1
		.amdhsa_ieee_mode 1
		.amdhsa_fp16_overflow 0
		.amdhsa_workgroup_processor_mode 1
		.amdhsa_memory_ordered 1
		.amdhsa_forward_progress 0
		.amdhsa_shared_vgpr_count 0
		.amdhsa_exception_fp_ieee_invalid_op 0
		.amdhsa_exception_fp_denorm_src 0
		.amdhsa_exception_fp_ieee_div_zero 0
		.amdhsa_exception_fp_ieee_overflow 0
		.amdhsa_exception_fp_ieee_underflow 0
		.amdhsa_exception_fp_ieee_inexact 0
		.amdhsa_exception_int_div_zero 0
	.end_amdhsa_kernel
	.text
.Lfunc_end25:
	.size	Transform_H_H_100_16_16_VW_4, .Lfunc_end25-Transform_H_H_100_16_16_VW_4
                                        ; -- End function
	.section	.AMDGPU.csdata,"",@progbits
; Kernel info:
; codeLenInByte = 1752
; NumSgprs: 36
; NumVgprs: 42
; ScratchSize: 64
; MemoryBound: 0
; FloatMode: 240
; IeeeMode: 1
; LDSByteSize: 0 bytes/workgroup (compile time only)
; SGPRBlocks: 4
; VGPRBlocks: 5
; NumSGPRsForWavesPerEU: 36
; NumVGPRsForWavesPerEU: 42
; Occupancy: 16
; WaveLimiterHint : 1
; COMPUTE_PGM_RSRC2:SCRATCH_EN: 1
; COMPUTE_PGM_RSRC2:USER_SGPR: 14
; COMPUTE_PGM_RSRC2:TRAP_HANDLER: 0
; COMPUTE_PGM_RSRC2:TGID_X_EN: 1
; COMPUTE_PGM_RSRC2:TGID_Y_EN: 0
; COMPUTE_PGM_RSRC2:TGID_Z_EN: 1
; COMPUTE_PGM_RSRC2:TIDIG_COMP_CNT: 0
	.text
	.protected	Transform_H_H_011_16_16_VW_1 ; -- Begin function Transform_H_H_011_16_16_VW_1
	.globl	Transform_H_H_011_16_16_VW_1
	.p2align	8
	.type	Transform_H_H_011_16_16_VW_1,@function
Transform_H_H_011_16_16_VW_1:           ; @Transform_H_H_011_16_16_VW_1
; %bb.0:
	s_mov_b64 s[22:23], s[0:1]
	s_load_b32 s0, s[0:1], 0x64
	v_mov_b32_e32 v41, v0
	s_mov_b32 s21, s15
	s_mov_b32 s24, s14
	;; [unrolled: 1-line block ×3, first 2 shown]
	s_waitcnt lgkmcnt(0)
	v_cmp_eq_u16_e64 s0, 0x100, s0
	s_delay_alu instid0(VALU_DEP_1)
	s_and_b32 vcc_lo, exec_lo, s0
	s_mov_b32 s0, -1
	s_cbranch_vccnz .LBB26_2
; %bb.1:
	s_add_u32 s8, s22, 0x58
	s_addc_u32 s9, s23, 0
	s_getpc_b64 s[0:1]
	s_add_u32 s0, s0, __PRETTY_FUNCTION__._ZN10amd_detail9transformIDF16_DF16_Lb0ELb1ELb1ELj16ELj16ELj1EEEvPT_PKS1_S4_T0_PKS5_S5_S7_jjjjjjbb@rel32@lo+4
	s_addc_u32 s1, s1, __PRETTY_FUNCTION__._ZN10amd_detail9transformIDF16_DF16_Lb0ELb1ELb1ELj16ELj16ELj1EEEvPT_PKS1_S4_T0_PKS5_S5_S7_jjjjjjbb@rel32@hi+12
	s_delay_alu instid0(SALU_CYCLE_1) | instskip(SKIP_3) | instid1(SALU_CYCLE_1)
	v_dual_mov_b32 v0, s0 :: v_dual_mov_b32 v1, s1
	s_getpc_b64 s[2:3]
	s_add_u32 s2, s2, __assert_fail@rel32@lo+4
	s_addc_u32 s3, s3, __assert_fail@rel32@hi+12
	s_swappc_b64 s[30:31], s[2:3]
	; divergent unreachable
	s_mov_b32 s0, 0
.LBB26_2:
	s_delay_alu instid0(SALU_CYCLE_1)
	s_and_not1_b32 vcc_lo, exec_lo, s0
	s_cbranch_vccnz .LBB26_13
; %bb.3:
	s_load_b256 s[0:7], s[22:23], 0x38
	s_waitcnt lgkmcnt(0)
	s_and_b32 s7, s0, 15
	s_lshr_b32 s8, s0, 4
	s_cmp_lg_u32 s7, 0
	s_cselect_b32 s7, -1, 0
	s_delay_alu instid0(SALU_CYCLE_1)
	s_cmp_lg_u32 s7, 0
	s_addc_u32 s7, s8, 0
	s_clause 0x1
	s_load_b32 s10, s[22:23], 0x18
	s_load_b64 s[8:9], s[22:23], 0x20
	v_cvt_f32_u32_e32 v0, s7
	s_sub_i32 s12, 0, s7
	s_delay_alu instid0(VALU_DEP_1) | instskip(SKIP_2) | instid1(VALU_DEP_1)
	v_rcp_iflag_f32_e32 v0, v0
	s_waitcnt_depctr 0xfff
	v_mul_f32_e32 v0, 0x4f7ffffe, v0
	v_cvt_u32_f32_e32 v0, v0
	s_delay_alu instid0(VALU_DEP_1) | instskip(SKIP_2) | instid1(VALU_DEP_2)
	v_readfirstlane_b32 s11, v0
	s_waitcnt lgkmcnt(0)
	v_mov_b32_e32 v0, s10
	s_mul_i32 s12, s12, s11
	s_delay_alu instid0(SALU_CYCLE_1) | instskip(NEXT) | instid1(SALU_CYCLE_1)
	s_mul_hi_u32 s12, s11, s12
	s_add_i32 s11, s11, s12
	s_cmp_eq_u64 s[8:9], 0
	s_mul_hi_u32 s10, s24, s11
	s_cbranch_scc1 .LBB26_5
; %bb.4:
	v_mov_b32_e32 v0, 0
	global_load_u16 v0, v0, s[8:9]
.LBB26_5:
	s_clause 0x1
	s_load_b32 s11, s[22:23], 0x28
	s_load_b64 s[8:9], s[22:23], 0x30
	s_waitcnt lgkmcnt(0)
	v_mov_b32_e32 v1, s11
	s_cmp_eq_u64 s[8:9], 0
	s_cbranch_scc1 .LBB26_7
; %bb.6:
	v_mov_b32_e32 v1, 0
	global_load_u16 v1, v1, s[8:9]
.LBB26_7:
	s_mul_i32 s8, s10, s7
	s_add_i32 s9, s10, 1
	s_sub_i32 s8, s24, s8
	v_and_b32_e32 v2, 15, v41
	s_sub_i32 s11, s8, s7
	s_cmp_ge_u32 s8, s7
	v_lshrrev_b32_e32 v4, 4, v41
	s_cselect_b32 s9, s9, s10
	s_cselect_b32 s8, s11, s8
	s_add_i32 s10, s9, 1
	s_cmp_ge_u32 s8, s7
	s_cselect_b32 s8, s10, s9
	s_delay_alu instid0(SALU_CYCLE_1) | instskip(NEXT) | instid1(SALU_CYCLE_1)
	s_mul_i32 s7, s8, s7
	s_sub_i32 s7, s24, s7
	s_delay_alu instid0(SALU_CYCLE_1) | instskip(SKIP_1) | instid1(VALU_DEP_2)
	v_lshl_or_b32 v3, s7, 4, v2
	v_lshl_add_u32 v2, s8, 4, v4
	v_cmp_gt_u32_e32 vcc_lo, s0, v3
	s_delay_alu instid0(VALU_DEP_2) | instskip(NEXT) | instid1(VALU_DEP_1)
	v_cmp_gt_u32_e64 s0, s1, v2
	s_and_b32 s0, vcc_lo, s0
	s_delay_alu instid0(SALU_CYCLE_1)
	s_and_saveexec_b32 s1, s0
	s_cbranch_execz .LBB26_13
; %bb.8:
	s_clause 0x1
	s_load_b128 s[8:11], s[22:23], 0x0
	s_load_b64 s[0:1], s[22:23], 0x10
	v_dual_mov_b32 v5, 0 :: v_dual_mov_b32 v4, 0
	s_mul_i32 s21, s21, s5
	s_waitcnt lgkmcnt(0)
	s_cmp_eq_u64 s[10:11], 0
	s_cbranch_scc1 .LBB26_10
; %bb.9:
	s_bitcmp1_b32 s6, 0
	v_mov_b32_e32 v7, 0
	s_cselect_b32 vcc_lo, -1, 0
	v_cndmask_b32_e32 v4, v2, v3, vcc_lo
	v_cndmask_b32_e32 v6, v3, v2, vcc_lo
	s_delay_alu instid0(VALU_DEP_2) | instskip(NEXT) | instid1(VALU_DEP_1)
	v_mul_lo_u32 v4, v4, s2
	v_add3_u32 v6, v6, s21, v4
	s_delay_alu instid0(VALU_DEP_1) | instskip(NEXT) | instid1(VALU_DEP_1)
	v_lshlrev_b64 v[6:7], 1, v[6:7]
	v_add_co_u32 v6, vcc_lo, s10, v6
	s_delay_alu instid0(VALU_DEP_2)
	v_add_co_ci_u32_e32 v7, vcc_lo, s11, v7, vcc_lo
	global_load_u16 v4, v[6:7], off
.LBB26_10:
	s_cmp_eq_u64 s[0:1], 0
	s_cbranch_scc1 .LBB26_12
; %bb.11:
	s_load_b32 s2, s[22:23], 0x50
	v_mov_b32_e32 v6, 0
	s_waitcnt lgkmcnt(0)
	s_bitcmp1_b32 s2, 8
	s_cselect_b32 vcc_lo, -1, 0
	v_cndmask_b32_e32 v5, v3, v2, vcc_lo
	v_cndmask_b32_e32 v7, v2, v3, vcc_lo
	s_delay_alu instid0(VALU_DEP_2) | instskip(NEXT) | instid1(VALU_DEP_1)
	v_mul_lo_u32 v5, v5, s3
	v_add3_u32 v5, v7, s21, v5
	s_delay_alu instid0(VALU_DEP_1) | instskip(NEXT) | instid1(VALU_DEP_1)
	v_lshlrev_b64 v[5:6], 1, v[5:6]
	v_add_co_u32 v5, vcc_lo, s0, v5
	s_delay_alu instid0(VALU_DEP_2)
	v_add_co_ci_u32_e32 v6, vcc_lo, s1, v6, vcc_lo
	global_load_u16 v5, v[5:6], off
.LBB26_12:
	v_mul_lo_u32 v6, v3, s4
	v_mov_b32_e32 v3, 0
	s_waitcnt vmcnt(0)
	v_mul_f16_e32 v5, v1, v5
	s_delay_alu instid0(VALU_DEP_1) | instskip(NEXT) | instid1(VALU_DEP_4)
	v_fmac_f16_e32 v5, v0, v4
	v_add3_u32 v2, v2, s21, v6
	s_delay_alu instid0(VALU_DEP_1) | instskip(NEXT) | instid1(VALU_DEP_1)
	v_lshlrev_b64 v[1:2], 1, v[2:3]
	v_add_co_u32 v0, vcc_lo, s8, v1
	s_delay_alu instid0(VALU_DEP_2)
	v_add_co_ci_u32_e32 v1, vcc_lo, s9, v2, vcc_lo
	global_store_b16 v[0:1], v5, off
.LBB26_13:
	s_endpgm
	.section	.rodata,"a",@progbits
	.p2align	6, 0x0
	.amdhsa_kernel Transform_H_H_011_16_16_VW_1
		.amdhsa_group_segment_fixed_size 0
		.amdhsa_private_segment_fixed_size 64
		.amdhsa_kernarg_size 344
		.amdhsa_user_sgpr_count 14
		.amdhsa_user_sgpr_dispatch_ptr 0
		.amdhsa_user_sgpr_queue_ptr 0
		.amdhsa_user_sgpr_kernarg_segment_ptr 1
		.amdhsa_user_sgpr_dispatch_id 0
		.amdhsa_user_sgpr_private_segment_size 0
		.amdhsa_wavefront_size32 1
		.amdhsa_uses_dynamic_stack 0
		.amdhsa_enable_private_segment 1
		.amdhsa_system_sgpr_workgroup_id_x 1
		.amdhsa_system_sgpr_workgroup_id_y 0
		.amdhsa_system_sgpr_workgroup_id_z 1
		.amdhsa_system_sgpr_workgroup_info 0
		.amdhsa_system_vgpr_workitem_id 0
		.amdhsa_next_free_vgpr 42
		.amdhsa_next_free_sgpr 34
		.amdhsa_reserve_vcc 1
		.amdhsa_float_round_mode_32 0
		.amdhsa_float_round_mode_16_64 0
		.amdhsa_float_denorm_mode_32 3
		.amdhsa_float_denorm_mode_16_64 3
		.amdhsa_dx10_clamp 1
		.amdhsa_ieee_mode 1
		.amdhsa_fp16_overflow 0
		.amdhsa_workgroup_processor_mode 1
		.amdhsa_memory_ordered 1
		.amdhsa_forward_progress 0
		.amdhsa_shared_vgpr_count 0
		.amdhsa_exception_fp_ieee_invalid_op 0
		.amdhsa_exception_fp_denorm_src 0
		.amdhsa_exception_fp_ieee_div_zero 0
		.amdhsa_exception_fp_ieee_overflow 0
		.amdhsa_exception_fp_ieee_underflow 0
		.amdhsa_exception_fp_ieee_inexact 0
		.amdhsa_exception_int_div_zero 0
	.end_amdhsa_kernel
	.text
.Lfunc_end26:
	.size	Transform_H_H_011_16_16_VW_1, .Lfunc_end26-Transform_H_H_011_16_16_VW_1
                                        ; -- End function
	.section	.AMDGPU.csdata,"",@progbits
; Kernel info:
; codeLenInByte = 744
; NumSgprs: 36
; NumVgprs: 42
; ScratchSize: 64
; MemoryBound: 0
; FloatMode: 240
; IeeeMode: 1
; LDSByteSize: 0 bytes/workgroup (compile time only)
; SGPRBlocks: 4
; VGPRBlocks: 5
; NumSGPRsForWavesPerEU: 36
; NumVGPRsForWavesPerEU: 42
; Occupancy: 16
; WaveLimiterHint : 1
; COMPUTE_PGM_RSRC2:SCRATCH_EN: 1
; COMPUTE_PGM_RSRC2:USER_SGPR: 14
; COMPUTE_PGM_RSRC2:TRAP_HANDLER: 0
; COMPUTE_PGM_RSRC2:TGID_X_EN: 1
; COMPUTE_PGM_RSRC2:TGID_Y_EN: 0
; COMPUTE_PGM_RSRC2:TGID_Z_EN: 1
; COMPUTE_PGM_RSRC2:TIDIG_COMP_CNT: 0
	.text
	.protected	Transform_H_H_011_16_16_VW_4 ; -- Begin function Transform_H_H_011_16_16_VW_4
	.globl	Transform_H_H_011_16_16_VW_4
	.p2align	8
	.type	Transform_H_H_011_16_16_VW_4,@function
Transform_H_H_011_16_16_VW_4:           ; @Transform_H_H_011_16_16_VW_4
; %bb.0:
	s_mov_b64 s[22:23], s[0:1]
	s_load_b32 s0, s[0:1], 0x64
	v_mov_b32_e32 v41, v0
	s_mov_b32 s24, s15
	s_mov_b32 s21, s14
	;; [unrolled: 1-line block ×3, first 2 shown]
	s_waitcnt lgkmcnt(0)
	v_cmp_eq_u16_e64 s0, 0x100, s0
	s_delay_alu instid0(VALU_DEP_1)
	s_and_b32 vcc_lo, exec_lo, s0
	s_mov_b32 s0, -1
	s_cbranch_vccnz .LBB27_2
; %bb.1:
	s_add_u32 s8, s22, 0x58
	s_addc_u32 s9, s23, 0
	s_getpc_b64 s[0:1]
	s_add_u32 s0, s0, __PRETTY_FUNCTION__._ZN10amd_detail9transformIDF16_DF16_Lb0ELb1ELb1ELj16ELj16ELj4EEEvPT_PKS1_S4_T0_PKS5_S5_S7_jjjjjjbb@rel32@lo+4
	s_addc_u32 s1, s1, __PRETTY_FUNCTION__._ZN10amd_detail9transformIDF16_DF16_Lb0ELb1ELb1ELj16ELj16ELj4EEEvPT_PKS1_S4_T0_PKS5_S5_S7_jjjjjjbb@rel32@hi+12
	s_delay_alu instid0(SALU_CYCLE_1) | instskip(SKIP_3) | instid1(SALU_CYCLE_1)
	v_dual_mov_b32 v0, s0 :: v_dual_mov_b32 v1, s1
	s_getpc_b64 s[2:3]
	s_add_u32 s2, s2, __assert_fail@rel32@lo+4
	s_addc_u32 s3, s3, __assert_fail@rel32@hi+12
	s_swappc_b64 s[30:31], s[2:3]
	; divergent unreachable
	s_mov_b32 s0, 0
.LBB27_2:
	s_delay_alu instid0(SALU_CYCLE_1)
	s_and_not1_b32 vcc_lo, exec_lo, s0
	s_cbranch_vccnz .LBB27_54
; %bb.3:
	s_load_b128 s[0:3], s[22:23], 0x38
	s_waitcnt lgkmcnt(0)
	s_and_b32 s4, s0, 15
	s_lshr_b32 s5, s0, 4
	s_cmp_lg_u32 s4, 0
	s_cselect_b32 s4, -1, 0
	s_delay_alu instid0(SALU_CYCLE_1)
	s_cmp_lg_u32 s4, 0
	s_addc_u32 s6, s5, 0
	s_clause 0x1
	s_load_b32 s7, s[22:23], 0x18
	s_load_b64 s[4:5], s[22:23], 0x20
	v_cvt_f32_u32_e32 v0, s6
	s_sub_i32 s9, 0, s6
	s_delay_alu instid0(VALU_DEP_1) | instskip(SKIP_3) | instid1(VALU_DEP_1)
	v_rcp_iflag_f32_e32 v0, v0
	s_waitcnt lgkmcnt(0)
	s_waitcnt_depctr 0xfff
	v_dual_mul_f32 v0, 0x4f7ffffe, v0 :: v_dual_mov_b32 v7, s7
	v_cvt_u32_f32_e32 v0, v0
	s_delay_alu instid0(VALU_DEP_1) | instskip(NEXT) | instid1(VALU_DEP_1)
	v_readfirstlane_b32 s8, v0
	s_mul_i32 s9, s9, s8
	s_delay_alu instid0(SALU_CYCLE_1) | instskip(NEXT) | instid1(SALU_CYCLE_1)
	s_mul_hi_u32 s9, s8, s9
	s_add_i32 s8, s8, s9
	s_cmp_eq_u64 s[4:5], 0
	s_mul_hi_u32 s7, s21, s8
	s_cbranch_scc1 .LBB27_5
; %bb.4:
	v_mov_b32_e32 v0, 0
	global_load_u16 v7, v0, s[4:5]
.LBB27_5:
	s_clause 0x1
	s_load_b32 s8, s[22:23], 0x28
	s_load_b64 s[4:5], s[22:23], 0x30
	s_waitcnt lgkmcnt(0)
	v_mov_b32_e32 v9, s8
	s_cmp_eq_u64 s[4:5], 0
	s_cbranch_scc1 .LBB27_7
; %bb.6:
	v_mov_b32_e32 v0, 0
	global_load_u16 v9, v0, s[4:5]
.LBB27_7:
	s_mul_i32 s4, s7, s6
	s_add_i32 s5, s7, 1
	s_sub_i32 s4, s21, s4
	v_and_b32_e32 v5, 15, v41
	s_sub_i32 s8, s4, s6
	s_cmp_ge_u32 s4, s6
	s_cselect_b32 s5, s5, s7
	s_cselect_b32 s4, s8, s4
	s_add_i32 s7, s5, 1
	s_cmp_ge_u32 s4, s6
	s_cselect_b32 s12, s7, s5
	s_delay_alu instid0(SALU_CYCLE_1) | instskip(NEXT) | instid1(SALU_CYCLE_1)
	s_mul_i32 s14, s12, s6
	s_sub_i32 s4, s21, s14
	s_delay_alu instid0(SALU_CYCLE_1) | instskip(NEXT) | instid1(VALU_DEP_1)
	v_lshl_or_b32 v2, s4, 4, v5
	v_cmp_gt_u32_e32 vcc_lo, s0, v2
	s_and_saveexec_b32 s0, vcc_lo
	s_cbranch_execz .LBB27_54
; %bb.8:
	v_lshrrev_b32_e32 v0, 2, v41
	s_clause 0x1
	s_load_b128 s[8:11], s[22:23], 0x48
	s_load_b128 s[4:7], s[22:23], 0x0
	s_waitcnt lgkmcnt(0)
	s_lshl_b32 s11, s12, 6
	s_load_b64 s[12:13], s[22:23], 0x10
	v_dual_mov_b32 v11, 0 :: v_dual_and_b32 v6, 0xfc, v0
	s_delay_alu instid0(VALU_DEP_1) | instskip(NEXT) | instid1(VALU_DEP_1)
	v_dual_mov_b32 v10, 0 :: v_dual_add_nc_u32 v1, s11, v6
	v_add_nc_u32_e32 v8, 4, v1
	v_mad_u64_u32 v[3:4], null, v2, s2, v[1:2]
	s_bitcmp1_b32 s10, 0
	s_delay_alu instid0(VALU_DEP_2)
	v_sub_nc_u32_e64 v0, v8, s1 clamp
	s_cselect_b32 vcc_lo, -1, 0
	s_cmp_lg_u64 s[6:7], 0
	s_mul_i32 s24, s24, s9
	s_cselect_b32 s10, -1, 0
	v_sub_nc_u32_e32 v14, v1, v0
	v_sub_nc_u32_e32 v12, v3, v0
	s_cmp_eq_u64 s[6:7], 0
	s_cbranch_scc1 .LBB27_10
; %bb.9:
	s_delay_alu instid0(VALU_DEP_2) | instskip(NEXT) | instid1(VALU_DEP_1)
	v_mad_u64_u32 v[3:4], null, v14, s2, v[2:3]
	v_dual_mov_b32 v4, 0 :: v_dual_cndmask_b32 v3, v3, v12
	s_delay_alu instid0(VALU_DEP_1) | instskip(NEXT) | instid1(VALU_DEP_1)
	v_add_nc_u32_e32 v3, s24, v3
	v_lshlrev_b64 v[3:4], 1, v[3:4]
	s_delay_alu instid0(VALU_DEP_1) | instskip(NEXT) | instid1(VALU_DEP_1)
	v_add_co_u32 v3, s0, s6, v3
	v_add_co_ci_u32_e64 v4, s0, s7, v4, s0
	global_load_u16 v10, v[3:4], off
.LBB27_10:
	s_load_b32 s0, s[22:23], 0x50
	v_mad_u64_u32 v[3:4], null, v2, s3, v[1:2]
	v_mul_lo_u32 v13, v14, s3
	s_xor_b32 s15, vcc_lo, -1
	s_delay_alu instid0(VALU_DEP_2)
	v_sub_nc_u32_e32 v15, v3, v0
	s_waitcnt lgkmcnt(0)
	s_bitcmp1_b32 s0, 8
	s_cselect_b32 s0, -1, 0
	s_cmp_lg_u64 s[12:13], 0
	s_cselect_b32 s9, -1, 0
	s_cmp_eq_u64 s[12:13], 0
	s_cbranch_scc1 .LBB27_12
; %bb.11:
	v_dual_mov_b32 v4, 0 :: v_dual_add_nc_u32 v3, v13, v2
	s_delay_alu instid0(VALU_DEP_1) | instskip(NEXT) | instid1(VALU_DEP_1)
	v_cndmask_b32_e64 v3, v15, v3, s0
	v_add_nc_u32_e32 v3, s24, v3
	s_delay_alu instid0(VALU_DEP_1) | instskip(NEXT) | instid1(VALU_DEP_1)
	v_lshlrev_b64 v[3:4], 1, v[3:4]
	v_add_co_u32 v3, vcc_lo, s12, v3
	s_delay_alu instid0(VALU_DEP_2)
	v_add_co_ci_u32_e32 v4, vcc_lo, s13, v4, vcc_lo
	global_load_u16 v11, v[3:4], off
.LBB27_12:
	v_cndmask_b32_e64 v18, 0, 1, s15
	s_and_not1_b32 vcc_lo, exec_lo, s15
	s_cbranch_vccnz .LBB27_14
; %bb.13:
	v_mul_lo_u32 v3, s2, v14
	s_delay_alu instid0(VALU_DEP_1)
	v_add3_u32 v3, v3, s2, v2
	s_xor_b32 s0, s0, -1
	s_cbranch_execz .LBB27_15
	s_branch .LBB27_16
.LBB27_14:
                                        ; implicit-def: $vgpr3
	s_xor_b32 s0, s0, -1
.LBB27_15:
	v_add_nc_u32_e32 v3, 1, v12
.LBB27_16:
	v_cndmask_b32_e64 v19, 0, 1, s0
	s_and_not1_b32 vcc_lo, exec_lo, s0
	s_cbranch_vccnz .LBB27_18
; %bb.17:
	v_add_nc_u32_e32 v4, 1, v15
	s_cbranch_execz .LBB27_19
	s_branch .LBB27_20
.LBB27_18:
                                        ; implicit-def: $vgpr4
.LBB27_19:
	v_add3_u32 v4, v13, s3, v2
.LBB27_20:
	v_cndmask_b32_e64 v20, 0, 1, s10
	v_dual_mov_b32 v17, 0 :: v_dual_mov_b32 v16, 0
	s_and_not1_b32 vcc_lo, exec_lo, s10
	s_cbranch_vccnz .LBB27_22
; %bb.21:
	v_dual_mov_b32 v22, 0 :: v_dual_add_nc_u32 v21, s24, v3
	s_delay_alu instid0(VALU_DEP_1) | instskip(NEXT) | instid1(VALU_DEP_1)
	v_lshlrev_b64 v[21:22], 1, v[21:22]
	v_add_co_u32 v21, vcc_lo, s6, v21
	s_delay_alu instid0(VALU_DEP_2)
	v_add_co_ci_u32_e32 v22, vcc_lo, s7, v22, vcc_lo
	global_load_u16 v16, v[21:22], off
.LBB27_22:
	v_cndmask_b32_e64 v21, 0, 1, s9
	s_and_not1_b32 vcc_lo, exec_lo, s9
	s_cbranch_vccnz .LBB27_24
; %bb.23:
	v_dual_mov_b32 v4, 0 :: v_dual_add_nc_u32 v3, s24, v4
	s_delay_alu instid0(VALU_DEP_1) | instskip(NEXT) | instid1(VALU_DEP_1)
	v_lshlrev_b64 v[3:4], 1, v[3:4]
	v_add_co_u32 v3, vcc_lo, s12, v3
	s_delay_alu instid0(VALU_DEP_2)
	v_add_co_ci_u32_e32 v4, vcc_lo, s13, v4, vcc_lo
	global_load_u16 v17, v[3:4], off
.LBB27_24:
	v_cmp_ne_u32_e32 vcc_lo, 1, v18
	s_cbranch_vccnz .LBB27_26
; %bb.25:
	v_add_nc_u32_e32 v22, 2, v14
	s_delay_alu instid0(VALU_DEP_1)
	v_mad_u64_u32 v[3:4], null, v22, s2, v[2:3]
	s_cbranch_execz .LBB27_27
	s_branch .LBB27_28
.LBB27_26:
                                        ; implicit-def: $vgpr3
.LBB27_27:
	v_add_nc_u32_e32 v3, 2, v12
.LBB27_28:
	v_cmp_ne_u32_e32 vcc_lo, 1, v19
	s_cbranch_vccnz .LBB27_30
; %bb.29:
	v_add_nc_u32_e32 v4, 2, v15
	s_cbranch_execz .LBB27_31
	s_branch .LBB27_32
.LBB27_30:
                                        ; implicit-def: $vgpr4
.LBB27_31:
	s_lshl_b32 s0, s3, 1
	s_delay_alu instid0(SALU_CYCLE_1)
	v_add3_u32 v4, v13, s0, v2
.LBB27_32:
	v_cmp_ne_u32_e32 vcc_lo, 1, v20
	v_dual_mov_b32 v23, 0 :: v_dual_mov_b32 v22, 0
	s_cbranch_vccnz .LBB27_34
; %bb.33:
	v_dual_mov_b32 v25, 0 :: v_dual_add_nc_u32 v24, s24, v3
	s_delay_alu instid0(VALU_DEP_1) | instskip(NEXT) | instid1(VALU_DEP_1)
	v_lshlrev_b64 v[24:25], 1, v[24:25]
	v_add_co_u32 v24, vcc_lo, s6, v24
	s_delay_alu instid0(VALU_DEP_2)
	v_add_co_ci_u32_e32 v25, vcc_lo, s7, v25, vcc_lo
	global_load_u16 v22, v[24:25], off
.LBB27_34:
	v_cmp_ne_u32_e32 vcc_lo, 1, v21
	s_cbranch_vccnz .LBB27_36
; %bb.35:
	v_dual_mov_b32 v4, 0 :: v_dual_add_nc_u32 v3, s24, v4
	s_delay_alu instid0(VALU_DEP_1) | instskip(NEXT) | instid1(VALU_DEP_1)
	v_lshlrev_b64 v[3:4], 1, v[3:4]
	v_add_co_u32 v3, vcc_lo, s12, v3
	s_delay_alu instid0(VALU_DEP_2)
	v_add_co_ci_u32_e32 v4, vcc_lo, s13, v4, vcc_lo
	global_load_u16 v23, v[3:4], off
.LBB27_36:
	v_cmp_ne_u32_e32 vcc_lo, 1, v18
	s_cbranch_vccnz .LBB27_38
; %bb.37:
	v_add_nc_u32_e32 v14, 3, v14
	s_delay_alu instid0(VALU_DEP_1)
	v_mad_u64_u32 v[3:4], null, v14, s2, v[2:3]
	s_cbranch_execz .LBB27_39
	s_branch .LBB27_40
.LBB27_38:
                                        ; implicit-def: $vgpr3
.LBB27_39:
	v_add_nc_u32_e32 v3, 3, v12
.LBB27_40:
	v_cmp_ne_u32_e32 vcc_lo, 1, v19
	s_cbranch_vccnz .LBB27_42
; %bb.41:
	v_add_nc_u32_e32 v4, 3, v15
	s_cbranch_execz .LBB27_43
	s_branch .LBB27_44
.LBB27_42:
                                        ; implicit-def: $vgpr4
.LBB27_43:
	s_mul_i32 s0, s3, 3
	s_delay_alu instid0(SALU_CYCLE_1)
	v_add3_u32 v4, v13, s0, v2
.LBB27_44:
	v_cmp_ne_u32_e32 vcc_lo, 1, v20
	v_dual_mov_b32 v13, 0 :: v_dual_mov_b32 v12, 0
	s_cbranch_vccnz .LBB27_46
; %bb.45:
	v_dual_mov_b32 v15, 0 :: v_dual_add_nc_u32 v14, s24, v3
	s_delay_alu instid0(VALU_DEP_1) | instskip(NEXT) | instid1(VALU_DEP_1)
	v_lshlrev_b64 v[14:15], 1, v[14:15]
	v_add_co_u32 v14, vcc_lo, s6, v14
	s_delay_alu instid0(VALU_DEP_2)
	v_add_co_ci_u32_e32 v15, vcc_lo, s7, v15, vcc_lo
	global_load_u16 v12, v[14:15], off
.LBB27_46:
	v_cmp_ne_u32_e32 vcc_lo, 1, v21
	s_cbranch_vccnz .LBB27_48
; %bb.47:
	v_dual_mov_b32 v4, 0 :: v_dual_add_nc_u32 v3, s24, v4
	s_delay_alu instid0(VALU_DEP_1) | instskip(NEXT) | instid1(VALU_DEP_1)
	v_lshlrev_b64 v[3:4], 1, v[3:4]
	v_add_co_u32 v3, vcc_lo, s12, v3
	s_delay_alu instid0(VALU_DEP_2)
	v_add_co_ci_u32_e32 v4, vcc_lo, s13, v4, vcc_lo
	global_load_u16 v13, v[3:4], off
.LBB27_48:
	s_waitcnt vmcnt(0)
	v_mul_f16_e32 v4, v9, v11
	v_mul_f16_e32 v11, v9, v17
	;; [unrolled: 1-line block ×4, first 2 shown]
	s_mov_b32 s0, exec_lo
	v_fmac_f16_e32 v4, v7, v10
	v_fmac_f16_e32 v11, v7, v16
	;; [unrolled: 1-line block ×4, first 2 shown]
	v_cmpx_ge_u32_e64 s1, v8
	s_xor_b32 s0, exec_lo, s0
	s_cbranch_execz .LBB27_50
; %bb.49:
	v_mul_lo_u32 v2, v2, s8
	s_delay_alu instid0(VALU_DEP_1) | instskip(NEXT) | instid1(VALU_DEP_1)
	v_add3_u32 v2, v1, s24, v2
	v_sub_nc_u32_e32 v0, v2, v0
	v_mov_b32_e32 v1, 0
	s_delay_alu instid0(VALU_DEP_2) | instskip(NEXT) | instid1(VALU_DEP_2)
	v_add_nc_u32_e32 v5, 1, v0
	v_lshlrev_b64 v[12:13], 1, v[0:1]
	v_add_nc_u32_e32 v7, 2, v0
	v_add_nc_u32_e32 v0, 3, v0
	v_mov_b32_e32 v6, v1
	v_mov_b32_e32 v8, v1
	v_add_co_u32 v12, vcc_lo, s4, v12
	s_delay_alu instid0(VALU_DEP_3) | instskip(NEXT) | instid1(VALU_DEP_3)
	v_lshlrev_b64 v[5:6], 1, v[5:6]
	v_lshlrev_b64 v[7:8], 1, v[7:8]
	v_add_co_ci_u32_e32 v13, vcc_lo, s5, v13, vcc_lo
	v_lshlrev_b64 v[0:1], 1, v[0:1]
	s_delay_alu instid0(VALU_DEP_4)
	v_add_co_u32 v5, vcc_lo, s4, v5
	v_add_co_ci_u32_e32 v6, vcc_lo, s5, v6, vcc_lo
	v_add_co_u32 v7, vcc_lo, s4, v7
	v_add_co_ci_u32_e32 v8, vcc_lo, s5, v8, vcc_lo
	;; [unrolled: 2-line block ×3, first 2 shown]
	s_clause 0x3
	global_store_b16 v[12:13], v4, off
	global_store_b16 v[5:6], v11, off
	;; [unrolled: 1-line block ×4, first 2 shown]
                                        ; implicit-def: $vgpr5
                                        ; implicit-def: $vgpr6
                                        ; implicit-def: $vgpr1
                                        ; implicit-def: $vgpr8
                                        ; implicit-def: $vgpr0
                                        ; implicit-def: $vgpr4
                                        ; implicit-def: $vgpr11
                                        ; implicit-def: $vgpr3
                                        ; implicit-def: $vgpr9
.LBB27_50:
	s_and_not1_saveexec_b32 s0, s0
	s_cbranch_execz .LBB27_54
; %bb.51:
	v_cmp_gt_u32_e32 vcc_lo, 4, v0
	s_and_b32 exec_lo, exec_lo, vcc_lo
	s_cbranch_execz .LBB27_54
; %bb.52:
	v_lshl_or_b32 v2, s21, 4, v5
	s_lshl_b32 s0, s14, 4
	v_min_u32_e32 v5, s1, v8
	s_add_i32 s11, s11, s24
	v_perm_b32 v3, v9, v3, 0x5040100
	v_subrev_nc_u32_e32 v2, s0, v2
	s_mov_b32 s2, 0
	v_sub_nc_u32_e32 v5, v1, v5
	v_mov_b32_e32 v1, 0
	s_delay_alu instid0(VALU_DEP_3) | instskip(NEXT) | instid1(VALU_DEP_1)
	v_mul_lo_u32 v2, s8, v2
	v_add3_u32 v7, s11, v2, v6
	s_delay_alu instid0(VALU_DEP_4) | instskip(SKIP_2) | instid1(VALU_DEP_4)
	v_add_nc_u32_e32 v6, 3, v5
	v_perm_b32 v2, v11, v4, 0x5040100
	v_dual_mov_b32 v5, v1 :: v_dual_mov_b32 v4, v0
	v_mov_b32_e32 v0, v7
	.p2align	6
.LBB27_53:                              ; =>This Inner Loop Header: Depth=1
	s_delay_alu instid0(VALU_DEP_1) | instskip(SKIP_1) | instid1(VALU_DEP_4)
	v_lshlrev_b64 v[7:8], 1, v[0:1]
	v_add_nc_u32_e32 v6, 1, v6
	v_lshlrev_b32_e32 v9, 4, v4
	v_add_co_u32 v4, vcc_lo, v4, 1
	v_add_nc_u32_e32 v0, 1, v0
	s_delay_alu instid0(VALU_DEP_4)
	v_cmp_lt_u32_e64 s0, 2, v6
	v_add_co_u32 v7, s1, s4, v7
	v_lshrrev_b64 v[9:10], v9, v[2:3]
	v_add_co_ci_u32_e64 v8, s1, s5, v8, s1
	v_add_co_ci_u32_e32 v5, vcc_lo, 0, v5, vcc_lo
	s_or_b32 s2, s0, s2
	global_store_b16 v[7:8], v9, off
	s_and_not1_b32 exec_lo, exec_lo, s2
	s_cbranch_execnz .LBB27_53
.LBB27_54:
	s_endpgm
	.section	.rodata,"a",@progbits
	.p2align	6, 0x0
	.amdhsa_kernel Transform_H_H_011_16_16_VW_4
		.amdhsa_group_segment_fixed_size 0
		.amdhsa_private_segment_fixed_size 64
		.amdhsa_kernarg_size 344
		.amdhsa_user_sgpr_count 14
		.amdhsa_user_sgpr_dispatch_ptr 0
		.amdhsa_user_sgpr_queue_ptr 0
		.amdhsa_user_sgpr_kernarg_segment_ptr 1
		.amdhsa_user_sgpr_dispatch_id 0
		.amdhsa_user_sgpr_private_segment_size 0
		.amdhsa_wavefront_size32 1
		.amdhsa_uses_dynamic_stack 0
		.amdhsa_enable_private_segment 1
		.amdhsa_system_sgpr_workgroup_id_x 1
		.amdhsa_system_sgpr_workgroup_id_y 0
		.amdhsa_system_sgpr_workgroup_id_z 1
		.amdhsa_system_sgpr_workgroup_info 0
		.amdhsa_system_vgpr_workitem_id 0
		.amdhsa_next_free_vgpr 42
		.amdhsa_next_free_sgpr 34
		.amdhsa_reserve_vcc 1
		.amdhsa_float_round_mode_32 0
		.amdhsa_float_round_mode_16_64 0
		.amdhsa_float_denorm_mode_32 3
		.amdhsa_float_denorm_mode_16_64 3
		.amdhsa_dx10_clamp 1
		.amdhsa_ieee_mode 1
		.amdhsa_fp16_overflow 0
		.amdhsa_workgroup_processor_mode 1
		.amdhsa_memory_ordered 1
		.amdhsa_forward_progress 0
		.amdhsa_shared_vgpr_count 0
		.amdhsa_exception_fp_ieee_invalid_op 0
		.amdhsa_exception_fp_denorm_src 0
		.amdhsa_exception_fp_ieee_div_zero 0
		.amdhsa_exception_fp_ieee_overflow 0
		.amdhsa_exception_fp_ieee_underflow 0
		.amdhsa_exception_fp_ieee_inexact 0
		.amdhsa_exception_int_div_zero 0
	.end_amdhsa_kernel
	.text
.Lfunc_end27:
	.size	Transform_H_H_011_16_16_VW_4, .Lfunc_end27-Transform_H_H_011_16_16_VW_4
                                        ; -- End function
	.section	.AMDGPU.csdata,"",@progbits
; Kernel info:
; codeLenInByte = 1768
; NumSgprs: 36
; NumVgprs: 42
; ScratchSize: 64
; MemoryBound: 0
; FloatMode: 240
; IeeeMode: 1
; LDSByteSize: 0 bytes/workgroup (compile time only)
; SGPRBlocks: 4
; VGPRBlocks: 5
; NumSGPRsForWavesPerEU: 36
; NumVGPRsForWavesPerEU: 42
; Occupancy: 16
; WaveLimiterHint : 1
; COMPUTE_PGM_RSRC2:SCRATCH_EN: 1
; COMPUTE_PGM_RSRC2:USER_SGPR: 14
; COMPUTE_PGM_RSRC2:TRAP_HANDLER: 0
; COMPUTE_PGM_RSRC2:TGID_X_EN: 1
; COMPUTE_PGM_RSRC2:TGID_Y_EN: 0
; COMPUTE_PGM_RSRC2:TGID_Z_EN: 1
; COMPUTE_PGM_RSRC2:TIDIG_COMP_CNT: 0
	.text
	.protected	Transform_H_H_010_16_16_VW_1 ; -- Begin function Transform_H_H_010_16_16_VW_1
	.globl	Transform_H_H_010_16_16_VW_1
	.p2align	8
	.type	Transform_H_H_010_16_16_VW_1,@function
Transform_H_H_010_16_16_VW_1:           ; @Transform_H_H_010_16_16_VW_1
; %bb.0:
	s_mov_b64 s[22:23], s[0:1]
	s_load_b32 s0, s[0:1], 0x64
	v_mov_b32_e32 v41, v0
	s_mov_b32 s21, s15
	s_mov_b32 s24, s14
	;; [unrolled: 1-line block ×3, first 2 shown]
	s_waitcnt lgkmcnt(0)
	v_cmp_eq_u16_e64 s0, 0x100, s0
	s_delay_alu instid0(VALU_DEP_1)
	s_and_b32 vcc_lo, exec_lo, s0
	s_mov_b32 s0, -1
	s_cbranch_vccnz .LBB28_2
; %bb.1:
	s_add_u32 s8, s22, 0x58
	s_addc_u32 s9, s23, 0
	s_getpc_b64 s[0:1]
	s_add_u32 s0, s0, __PRETTY_FUNCTION__._ZN10amd_detail9transformIDF16_DF16_Lb0ELb1ELb0ELj16ELj16ELj1EEEvPT_PKS1_S4_T0_PKS5_S5_S7_jjjjjjbb@rel32@lo+4
	s_addc_u32 s1, s1, __PRETTY_FUNCTION__._ZN10amd_detail9transformIDF16_DF16_Lb0ELb1ELb0ELj16ELj16ELj1EEEvPT_PKS1_S4_T0_PKS5_S5_S7_jjjjjjbb@rel32@hi+12
	s_delay_alu instid0(SALU_CYCLE_1) | instskip(SKIP_3) | instid1(SALU_CYCLE_1)
	v_dual_mov_b32 v0, s0 :: v_dual_mov_b32 v1, s1
	s_getpc_b64 s[2:3]
	s_add_u32 s2, s2, __assert_fail@rel32@lo+4
	s_addc_u32 s3, s3, __assert_fail@rel32@hi+12
	s_swappc_b64 s[30:31], s[2:3]
	; divergent unreachable
	s_mov_b32 s0, 0
.LBB28_2:
	s_delay_alu instid0(SALU_CYCLE_1)
	s_and_not1_b32 vcc_lo, exec_lo, s0
	s_cbranch_vccnz .LBB28_13
; %bb.3:
	s_load_b256 s[0:7], s[22:23], 0x38
	s_waitcnt lgkmcnt(0)
	s_and_b32 s7, s0, 15
	s_lshr_b32 s8, s0, 4
	s_cmp_lg_u32 s7, 0
	s_cselect_b32 s7, -1, 0
	s_delay_alu instid0(SALU_CYCLE_1)
	s_cmp_lg_u32 s7, 0
	s_addc_u32 s7, s8, 0
	s_clause 0x1
	s_load_b32 s10, s[22:23], 0x18
	s_load_b64 s[8:9], s[22:23], 0x20
	v_cvt_f32_u32_e32 v0, s7
	s_sub_i32 s12, 0, s7
	s_delay_alu instid0(VALU_DEP_1) | instskip(SKIP_2) | instid1(VALU_DEP_1)
	v_rcp_iflag_f32_e32 v0, v0
	s_waitcnt_depctr 0xfff
	v_mul_f32_e32 v0, 0x4f7ffffe, v0
	v_cvt_u32_f32_e32 v0, v0
	s_delay_alu instid0(VALU_DEP_1) | instskip(SKIP_2) | instid1(VALU_DEP_2)
	v_readfirstlane_b32 s11, v0
	s_waitcnt lgkmcnt(0)
	v_mov_b32_e32 v0, s10
	s_mul_i32 s12, s12, s11
	s_delay_alu instid0(SALU_CYCLE_1) | instskip(NEXT) | instid1(SALU_CYCLE_1)
	s_mul_hi_u32 s12, s11, s12
	s_add_i32 s11, s11, s12
	s_cmp_eq_u64 s[8:9], 0
	s_mul_hi_u32 s10, s24, s11
	s_cbranch_scc1 .LBB28_5
; %bb.4:
	v_mov_b32_e32 v0, 0
	global_load_u16 v0, v0, s[8:9]
.LBB28_5:
	s_clause 0x1
	s_load_b32 s11, s[22:23], 0x28
	s_load_b64 s[8:9], s[22:23], 0x30
	s_waitcnt lgkmcnt(0)
	v_mov_b32_e32 v1, s11
	s_cmp_eq_u64 s[8:9], 0
	s_cbranch_scc1 .LBB28_7
; %bb.6:
	v_mov_b32_e32 v1, 0
	global_load_u16 v1, v1, s[8:9]
.LBB28_7:
	s_mul_i32 s8, s10, s7
	s_add_i32 s9, s10, 1
	s_sub_i32 s8, s24, s8
	v_and_b32_e32 v2, 15, v41
	s_sub_i32 s11, s8, s7
	s_cmp_ge_u32 s8, s7
	v_lshrrev_b32_e32 v3, 4, v41
	s_cselect_b32 s9, s9, s10
	s_cselect_b32 s8, s11, s8
	s_add_i32 s10, s9, 1
	s_cmp_ge_u32 s8, s7
	s_cselect_b32 s8, s10, s9
	s_delay_alu instid0(SALU_CYCLE_1) | instskip(SKIP_2) | instid1(SALU_CYCLE_1)
	s_mul_i32 s7, s8, s7
	v_lshl_add_u32 v3, s8, 4, v3
	s_sub_i32 s7, s24, s7
	v_lshl_or_b32 v2, s7, 4, v2
	s_delay_alu instid0(VALU_DEP_1) | instskip(NEXT) | instid1(VALU_DEP_3)
	v_cmp_gt_u32_e32 vcc_lo, s0, v2
	v_cmp_gt_u32_e64 s0, s1, v3
	s_delay_alu instid0(VALU_DEP_1) | instskip(NEXT) | instid1(SALU_CYCLE_1)
	s_and_b32 s0, vcc_lo, s0
	s_and_saveexec_b32 s1, s0
	s_cbranch_execz .LBB28_13
; %bb.8:
	s_clause 0x1
	s_load_b128 s[8:11], s[22:23], 0x0
	s_load_b64 s[0:1], s[22:23], 0x10
	v_dual_mov_b32 v5, 0 :: v_dual_mov_b32 v4, 0
	s_mul_i32 s21, s21, s5
	s_waitcnt lgkmcnt(0)
	s_cmp_eq_u64 s[10:11], 0
	s_cbranch_scc1 .LBB28_10
; %bb.9:
	s_bitcmp1_b32 s6, 0
	v_mov_b32_e32 v7, 0
	s_cselect_b32 vcc_lo, -1, 0
	v_cndmask_b32_e32 v4, v3, v2, vcc_lo
	v_cndmask_b32_e32 v6, v2, v3, vcc_lo
	s_delay_alu instid0(VALU_DEP_2) | instskip(NEXT) | instid1(VALU_DEP_1)
	v_mul_lo_u32 v4, v4, s2
	v_add3_u32 v6, v6, s21, v4
	s_delay_alu instid0(VALU_DEP_1) | instskip(NEXT) | instid1(VALU_DEP_1)
	v_lshlrev_b64 v[6:7], 1, v[6:7]
	v_add_co_u32 v6, vcc_lo, s10, v6
	s_delay_alu instid0(VALU_DEP_2)
	v_add_co_ci_u32_e32 v7, vcc_lo, s11, v7, vcc_lo
	global_load_u16 v4, v[6:7], off
.LBB28_10:
	s_cmp_eq_u64 s[0:1], 0
	s_cbranch_scc1 .LBB28_12
; %bb.11:
	s_load_b32 s2, s[22:23], 0x50
	v_mov_b32_e32 v6, 0
	s_waitcnt lgkmcnt(0)
	s_bitcmp1_b32 s2, 8
	s_cselect_b32 vcc_lo, -1, 0
	v_cndmask_b32_e32 v5, v2, v3, vcc_lo
	v_cndmask_b32_e32 v7, v3, v2, vcc_lo
	s_delay_alu instid0(VALU_DEP_2) | instskip(NEXT) | instid1(VALU_DEP_1)
	v_mul_lo_u32 v5, v5, s3
	v_add3_u32 v5, v7, s21, v5
	s_delay_alu instid0(VALU_DEP_1) | instskip(NEXT) | instid1(VALU_DEP_1)
	v_lshlrev_b64 v[5:6], 1, v[5:6]
	v_add_co_u32 v5, vcc_lo, s0, v5
	s_delay_alu instid0(VALU_DEP_2)
	v_add_co_ci_u32_e32 v6, vcc_lo, s1, v6, vcc_lo
	global_load_u16 v5, v[5:6], off
.LBB28_12:
	v_mul_lo_u32 v6, v3, s4
	v_mov_b32_e32 v3, 0
	s_waitcnt vmcnt(0)
	v_mul_f16_e32 v5, v1, v5
	s_delay_alu instid0(VALU_DEP_1) | instskip(NEXT) | instid1(VALU_DEP_4)
	v_fmac_f16_e32 v5, v0, v4
	v_add3_u32 v2, v2, s21, v6
	s_delay_alu instid0(VALU_DEP_1) | instskip(NEXT) | instid1(VALU_DEP_1)
	v_lshlrev_b64 v[1:2], 1, v[2:3]
	v_add_co_u32 v0, vcc_lo, s8, v1
	s_delay_alu instid0(VALU_DEP_2)
	v_add_co_ci_u32_e32 v1, vcc_lo, s9, v2, vcc_lo
	global_store_b16 v[0:1], v5, off
.LBB28_13:
	s_endpgm
	.section	.rodata,"a",@progbits
	.p2align	6, 0x0
	.amdhsa_kernel Transform_H_H_010_16_16_VW_1
		.amdhsa_group_segment_fixed_size 0
		.amdhsa_private_segment_fixed_size 64
		.amdhsa_kernarg_size 344
		.amdhsa_user_sgpr_count 14
		.amdhsa_user_sgpr_dispatch_ptr 0
		.amdhsa_user_sgpr_queue_ptr 0
		.amdhsa_user_sgpr_kernarg_segment_ptr 1
		.amdhsa_user_sgpr_dispatch_id 0
		.amdhsa_user_sgpr_private_segment_size 0
		.amdhsa_wavefront_size32 1
		.amdhsa_uses_dynamic_stack 0
		.amdhsa_enable_private_segment 1
		.amdhsa_system_sgpr_workgroup_id_x 1
		.amdhsa_system_sgpr_workgroup_id_y 0
		.amdhsa_system_sgpr_workgroup_id_z 1
		.amdhsa_system_sgpr_workgroup_info 0
		.amdhsa_system_vgpr_workitem_id 0
		.amdhsa_next_free_vgpr 42
		.amdhsa_next_free_sgpr 34
		.amdhsa_reserve_vcc 1
		.amdhsa_float_round_mode_32 0
		.amdhsa_float_round_mode_16_64 0
		.amdhsa_float_denorm_mode_32 3
		.amdhsa_float_denorm_mode_16_64 3
		.amdhsa_dx10_clamp 1
		.amdhsa_ieee_mode 1
		.amdhsa_fp16_overflow 0
		.amdhsa_workgroup_processor_mode 1
		.amdhsa_memory_ordered 1
		.amdhsa_forward_progress 0
		.amdhsa_shared_vgpr_count 0
		.amdhsa_exception_fp_ieee_invalid_op 0
		.amdhsa_exception_fp_denorm_src 0
		.amdhsa_exception_fp_ieee_div_zero 0
		.amdhsa_exception_fp_ieee_overflow 0
		.amdhsa_exception_fp_ieee_underflow 0
		.amdhsa_exception_fp_ieee_inexact 0
		.amdhsa_exception_int_div_zero 0
	.end_amdhsa_kernel
	.text
.Lfunc_end28:
	.size	Transform_H_H_010_16_16_VW_1, .Lfunc_end28-Transform_H_H_010_16_16_VW_1
                                        ; -- End function
	.section	.AMDGPU.csdata,"",@progbits
; Kernel info:
; codeLenInByte = 740
; NumSgprs: 36
; NumVgprs: 42
; ScratchSize: 64
; MemoryBound: 0
; FloatMode: 240
; IeeeMode: 1
; LDSByteSize: 0 bytes/workgroup (compile time only)
; SGPRBlocks: 4
; VGPRBlocks: 5
; NumSGPRsForWavesPerEU: 36
; NumVGPRsForWavesPerEU: 42
; Occupancy: 16
; WaveLimiterHint : 1
; COMPUTE_PGM_RSRC2:SCRATCH_EN: 1
; COMPUTE_PGM_RSRC2:USER_SGPR: 14
; COMPUTE_PGM_RSRC2:TRAP_HANDLER: 0
; COMPUTE_PGM_RSRC2:TGID_X_EN: 1
; COMPUTE_PGM_RSRC2:TGID_Y_EN: 0
; COMPUTE_PGM_RSRC2:TGID_Z_EN: 1
; COMPUTE_PGM_RSRC2:TIDIG_COMP_CNT: 0
	.text
	.protected	Transform_H_H_010_16_16_VW_4 ; -- Begin function Transform_H_H_010_16_16_VW_4
	.globl	Transform_H_H_010_16_16_VW_4
	.p2align	8
	.type	Transform_H_H_010_16_16_VW_4,@function
Transform_H_H_010_16_16_VW_4:           ; @Transform_H_H_010_16_16_VW_4
; %bb.0:
	s_mov_b64 s[22:23], s[0:1]
	s_load_b32 s0, s[0:1], 0x64
	v_mov_b32_e32 v41, v0
	s_mov_b32 s24, s15
	s_mov_b32 s21, s14
	;; [unrolled: 1-line block ×3, first 2 shown]
	s_waitcnt lgkmcnt(0)
	v_cmp_eq_u16_e64 s0, 0x100, s0
	s_delay_alu instid0(VALU_DEP_1)
	s_and_b32 vcc_lo, exec_lo, s0
	s_mov_b32 s0, -1
	s_cbranch_vccnz .LBB29_2
; %bb.1:
	s_add_u32 s8, s22, 0x58
	s_addc_u32 s9, s23, 0
	s_getpc_b64 s[0:1]
	s_add_u32 s0, s0, __PRETTY_FUNCTION__._ZN10amd_detail9transformIDF16_DF16_Lb0ELb1ELb0ELj16ELj16ELj4EEEvPT_PKS1_S4_T0_PKS5_S5_S7_jjjjjjbb@rel32@lo+4
	s_addc_u32 s1, s1, __PRETTY_FUNCTION__._ZN10amd_detail9transformIDF16_DF16_Lb0ELb1ELb0ELj16ELj16ELj4EEEvPT_PKS1_S4_T0_PKS5_S5_S7_jjjjjjbb@rel32@hi+12
	s_delay_alu instid0(SALU_CYCLE_1) | instskip(SKIP_3) | instid1(SALU_CYCLE_1)
	v_dual_mov_b32 v0, s0 :: v_dual_mov_b32 v1, s1
	s_getpc_b64 s[2:3]
	s_add_u32 s2, s2, __assert_fail@rel32@lo+4
	s_addc_u32 s3, s3, __assert_fail@rel32@hi+12
	s_swappc_b64 s[30:31], s[2:3]
	; divergent unreachable
	s_mov_b32 s0, 0
.LBB29_2:
	s_delay_alu instid0(SALU_CYCLE_1)
	s_and_not1_b32 vcc_lo, exec_lo, s0
	s_cbranch_vccnz .LBB29_54
; %bb.3:
	s_load_b256 s[4:11], s[22:23], 0x38
	s_waitcnt lgkmcnt(0)
	s_and_b32 s0, s4, 63
	s_lshr_b32 s1, s4, 6
	s_cmp_lg_u32 s0, 0
	s_cselect_b32 s0, -1, 0
	s_delay_alu instid0(SALU_CYCLE_1)
	s_cmp_lg_u32 s0, 0
	s_addc_u32 s2, s1, 0
	s_clause 0x1
	s_load_b32 s3, s[22:23], 0x18
	s_load_b64 s[0:1], s[22:23], 0x20
	v_cvt_f32_u32_e32 v0, s2
	s_sub_i32 s12, 0, s2
	s_delay_alu instid0(VALU_DEP_1) | instskip(SKIP_4) | instid1(VALU_DEP_2)
	v_rcp_iflag_f32_e32 v0, v0
	s_waitcnt_depctr 0xfff
	v_mul_f32_e32 v0, 0x4f7ffffe, v0
	s_waitcnt lgkmcnt(0)
	v_mov_b32_e32 v8, s3
	v_cvt_u32_f32_e32 v0, v0
	s_delay_alu instid0(VALU_DEP_1) | instskip(NEXT) | instid1(VALU_DEP_1)
	v_readfirstlane_b32 s11, v0
	s_mul_i32 s12, s12, s11
	s_delay_alu instid0(SALU_CYCLE_1) | instskip(NEXT) | instid1(SALU_CYCLE_1)
	s_mul_hi_u32 s12, s11, s12
	s_add_i32 s11, s11, s12
	s_cmp_eq_u64 s[0:1], 0
	s_mul_hi_u32 s3, s21, s11
	s_cbranch_scc1 .LBB29_5
; %bb.4:
	v_mov_b32_e32 v0, 0
	global_load_u16 v8, v0, s[0:1]
.LBB29_5:
	s_clause 0x1
	s_load_b32 s11, s[22:23], 0x28
	s_load_b64 s[0:1], s[22:23], 0x30
	s_waitcnt lgkmcnt(0)
	v_mov_b32_e32 v11, s11
	s_cmp_eq_u64 s[0:1], 0
	s_cbranch_scc1 .LBB29_7
; %bb.6:
	v_mov_b32_e32 v0, 0
	global_load_u16 v11, v0, s[0:1]
.LBB29_7:
	s_mul_i32 s0, s3, s2
	s_add_i32 s1, s3, 1
	s_sub_i32 s0, s21, s0
	v_lshrrev_b32_e32 v0, 4, v41
	s_sub_i32 s11, s0, s2
	s_cmp_ge_u32 s0, s2
	s_cselect_b32 s1, s1, s3
	s_cselect_b32 s0, s11, s0
	s_add_i32 s3, s1, 1
	s_cmp_ge_u32 s0, s2
	s_mov_b32 s0, exec_lo
	s_cselect_b32 s1, s3, s1
	s_delay_alu instid0(SALU_CYCLE_1) | instskip(NEXT) | instid1(VALU_DEP_1)
	v_lshl_add_u32 v0, s1, 4, v0
	v_cmpx_gt_u32_e64 s5, v0
	s_cbranch_execz .LBB29_54
; %bb.8:
	v_dual_mov_b32 v14, 0 :: v_dual_lshlrev_b32 v1, 2, v41
	s_mul_i32 s1, s1, s2
	s_clause 0x1
	s_load_b128 s[12:15], s[22:23], 0x0
	s_load_b64 s[2:3], s[22:23], 0x10
	v_and_b32_e32 v9, 60, v1
	s_sub_i32 s0, s21, s1
	s_bitcmp1_b32 s10, 0
	v_mov_b32_e32 v15, 0
	s_cselect_b32 vcc_lo, -1, 0
	v_lshl_or_b32 v12, s0, 6, v9
	s_mul_i32 s24, s24, s9
	s_delay_alu instid0(VALU_DEP_1) | instskip(NEXT) | instid1(VALU_DEP_1)
	v_add_nc_u32_e32 v13, 4, v12
	v_sub_nc_u32_e64 v10, v13, s4 clamp
	s_waitcnt lgkmcnt(0)
	s_cmp_lg_u64 s[14:15], 0
	s_cselect_b32 s5, -1, 0
	s_delay_alu instid0(VALU_DEP_1) | instskip(SKIP_1) | instid1(VALU_DEP_1)
	v_sub_nc_u32_e32 v1, v12, v10
	s_cmp_eq_u64 s[14:15], 0
	v_mad_u64_u32 v[4:5], null, v0, s6, v[1:2]
	s_cbranch_scc1 .LBB29_10
; %bb.9:
	v_mad_u64_u32 v[2:3], null, v1, s6, v[0:1]
	s_delay_alu instid0(VALU_DEP_1) | instskip(NEXT) | instid1(VALU_DEP_1)
	v_dual_mov_b32 v3, 0 :: v_dual_cndmask_b32 v2, v4, v2
	v_add_nc_u32_e32 v2, s24, v2
	s_delay_alu instid0(VALU_DEP_1) | instskip(NEXT) | instid1(VALU_DEP_1)
	v_lshlrev_b64 v[2:3], 1, v[2:3]
	v_add_co_u32 v2, s0, s14, v2
	s_delay_alu instid0(VALU_DEP_1)
	v_add_co_ci_u32_e64 v3, s0, s15, v3, s0
	global_load_u16 v14, v[2:3], off
.LBB29_10:
	s_load_b32 s0, s[22:23], 0x50
	v_mad_u64_u32 v[2:3], null, v0, s7, v[1:2]
	s_xor_b32 s10, vcc_lo, -1
	s_waitcnt lgkmcnt(0)
	s_bitcmp1_b32 s0, 8
	s_cselect_b32 s0, -1, 0
	s_cmp_lg_u64 s[2:3], 0
	s_cselect_b32 s9, -1, 0
	s_cmp_eq_u64 s[2:3], 0
	s_cbranch_scc1 .LBB29_12
; %bb.11:
	v_mad_u64_u32 v[5:6], null, v1, s7, v[0:1]
	s_delay_alu instid0(VALU_DEP_1) | instskip(NEXT) | instid1(VALU_DEP_1)
	v_cndmask_b32_e64 v3, v5, v2, s0
	v_dual_mov_b32 v6, 0 :: v_dual_add_nc_u32 v5, s24, v3
	s_delay_alu instid0(VALU_DEP_1) | instskip(NEXT) | instid1(VALU_DEP_1)
	v_lshlrev_b64 v[5:6], 1, v[5:6]
	v_add_co_u32 v5, vcc_lo, s2, v5
	s_delay_alu instid0(VALU_DEP_2)
	v_add_co_ci_u32_e32 v6, vcc_lo, s3, v6, vcc_lo
	global_load_u16 v15, v[5:6], off
.LBB29_12:
	v_cndmask_b32_e64 v3, 0, 1, s10
	s_and_not1_b32 vcc_lo, exec_lo, s10
	s_cbranch_vccnz .LBB29_14
; %bb.13:
	v_add_nc_u32_e32 v5, 1, v4
	s_xor_b32 s0, s0, -1
	s_cbranch_execz .LBB29_15
	s_branch .LBB29_16
.LBB29_14:
                                        ; implicit-def: $vgpr5
	s_xor_b32 s0, s0, -1
.LBB29_15:
	v_mul_lo_u32 v5, s6, v1
	s_delay_alu instid0(VALU_DEP_1)
	v_add3_u32 v5, v5, s6, v0
.LBB29_16:
	v_cndmask_b32_e64 v18, 0, 1, s0
	s_and_not1_b32 vcc_lo, exec_lo, s0
	s_cbranch_vccnz .LBB29_18
; %bb.17:
	v_mul_lo_u32 v6, s7, v1
	s_delay_alu instid0(VALU_DEP_1)
	v_add3_u32 v6, v6, s7, v0
	s_cbranch_execz .LBB29_19
	s_branch .LBB29_20
.LBB29_18:
                                        ; implicit-def: $vgpr6
.LBB29_19:
	v_add_nc_u32_e32 v6, 1, v2
.LBB29_20:
	v_cndmask_b32_e64 v19, 0, 1, s5
	v_dual_mov_b32 v17, 0 :: v_dual_mov_b32 v16, 0
	s_and_not1_b32 vcc_lo, exec_lo, s5
	s_cbranch_vccnz .LBB29_22
; %bb.21:
	v_dual_mov_b32 v21, 0 :: v_dual_add_nc_u32 v20, s24, v5
	s_delay_alu instid0(VALU_DEP_1) | instskip(NEXT) | instid1(VALU_DEP_1)
	v_lshlrev_b64 v[20:21], 1, v[20:21]
	v_add_co_u32 v20, vcc_lo, s14, v20
	s_delay_alu instid0(VALU_DEP_2)
	v_add_co_ci_u32_e32 v21, vcc_lo, s15, v21, vcc_lo
	global_load_u16 v16, v[20:21], off
.LBB29_22:
	v_cndmask_b32_e64 v20, 0, 1, s9
	s_and_not1_b32 vcc_lo, exec_lo, s9
	s_cbranch_vccnz .LBB29_24
; %bb.23:
	v_dual_mov_b32 v6, 0 :: v_dual_add_nc_u32 v5, s24, v6
	s_delay_alu instid0(VALU_DEP_1) | instskip(NEXT) | instid1(VALU_DEP_1)
	v_lshlrev_b64 v[5:6], 1, v[5:6]
	v_add_co_u32 v5, vcc_lo, s2, v5
	s_delay_alu instid0(VALU_DEP_2)
	v_add_co_ci_u32_e32 v6, vcc_lo, s3, v6, vcc_lo
	global_load_u16 v17, v[5:6], off
.LBB29_24:
	v_cmp_ne_u32_e32 vcc_lo, 1, v3
	s_cbranch_vccnz .LBB29_26
; %bb.25:
	v_add_nc_u32_e32 v5, 2, v4
	v_add_nc_u32_e32 v21, 2, v1
	s_cbranch_execz .LBB29_27
	s_branch .LBB29_28
.LBB29_26:
                                        ; implicit-def: $vgpr5
	v_add_nc_u32_e32 v21, 2, v1
.LBB29_27:
	s_delay_alu instid0(VALU_DEP_1)
	v_mad_u64_u32 v[5:6], null, v21, s6, v[0:1]
.LBB29_28:
	v_cmp_ne_u32_e32 vcc_lo, 1, v18
	s_cbranch_vccnz .LBB29_30
; %bb.29:
	v_mad_u64_u32 v[6:7], null, v21, s7, v[0:1]
	s_cbranch_execz .LBB29_31
	s_branch .LBB29_32
.LBB29_30:
                                        ; implicit-def: $vgpr6
.LBB29_31:
	v_add_nc_u32_e32 v6, 2, v2
.LBB29_32:
	v_cmp_ne_u32_e32 vcc_lo, 1, v19
	v_mov_b32_e32 v21, 0
	v_mov_b32_e32 v7, 0
	s_cbranch_vccnz .LBB29_34
; %bb.33:
	v_dual_mov_b32 v23, 0 :: v_dual_add_nc_u32 v22, s24, v5
	s_delay_alu instid0(VALU_DEP_1) | instskip(NEXT) | instid1(VALU_DEP_1)
	v_lshlrev_b64 v[22:23], 1, v[22:23]
	v_add_co_u32 v22, vcc_lo, s14, v22
	s_delay_alu instid0(VALU_DEP_2)
	v_add_co_ci_u32_e32 v23, vcc_lo, s15, v23, vcc_lo
	global_load_u16 v7, v[22:23], off
.LBB29_34:
	v_cmp_ne_u32_e32 vcc_lo, 1, v20
	s_cbranch_vccnz .LBB29_36
; %bb.35:
	v_dual_mov_b32 v6, 0 :: v_dual_add_nc_u32 v5, s24, v6
	s_delay_alu instid0(VALU_DEP_1) | instskip(NEXT) | instid1(VALU_DEP_1)
	v_lshlrev_b64 v[5:6], 1, v[5:6]
	v_add_co_u32 v5, vcc_lo, s2, v5
	s_delay_alu instid0(VALU_DEP_2)
	v_add_co_ci_u32_e32 v6, vcc_lo, s3, v6, vcc_lo
	global_load_u16 v21, v[5:6], off
.LBB29_36:
	v_cmp_ne_u32_e32 vcc_lo, 1, v3
	s_cbranch_vccnz .LBB29_38
; %bb.37:
	v_add_nc_u32_e32 v3, 3, v4
	v_add_nc_u32_e32 v1, 3, v1
	s_cbranch_execz .LBB29_39
	s_branch .LBB29_40
.LBB29_38:
                                        ; implicit-def: $vgpr3
	v_add_nc_u32_e32 v1, 3, v1
.LBB29_39:
	s_delay_alu instid0(VALU_DEP_1)
	v_mad_u64_u32 v[3:4], null, v1, s6, v[0:1]
.LBB29_40:
	v_cmp_ne_u32_e32 vcc_lo, 1, v18
	s_cbranch_vccnz .LBB29_42
; %bb.41:
	v_mad_u64_u32 v[4:5], null, v1, s7, v[0:1]
	s_cbranch_execz .LBB29_43
	s_branch .LBB29_44
.LBB29_42:
                                        ; implicit-def: $vgpr4
.LBB29_43:
	v_add_nc_u32_e32 v4, 3, v2
.LBB29_44:
	v_cmp_ne_u32_e32 vcc_lo, 1, v19
	v_dual_mov_b32 v6, 0 :: v_dual_mov_b32 v1, 0
	s_cbranch_vccnz .LBB29_46
; %bb.45:
	v_dual_mov_b32 v2, 0 :: v_dual_add_nc_u32 v1, s24, v3
	s_delay_alu instid0(VALU_DEP_1) | instskip(NEXT) | instid1(VALU_DEP_1)
	v_lshlrev_b64 v[1:2], 1, v[1:2]
	v_add_co_u32 v1, vcc_lo, s14, v1
	s_delay_alu instid0(VALU_DEP_2)
	v_add_co_ci_u32_e32 v2, vcc_lo, s15, v2, vcc_lo
	global_load_u16 v1, v[1:2], off
.LBB29_46:
	v_cmp_ne_u32_e32 vcc_lo, 1, v20
	s_cbranch_vccnz .LBB29_48
; %bb.47:
	v_dual_mov_b32 v3, 0 :: v_dual_add_nc_u32 v2, s24, v4
	s_delay_alu instid0(VALU_DEP_1) | instskip(NEXT) | instid1(VALU_DEP_1)
	v_lshlrev_b64 v[2:3], 1, v[2:3]
	v_add_co_u32 v2, vcc_lo, s2, v2
	s_delay_alu instid0(VALU_DEP_2)
	v_add_co_ci_u32_e32 v3, vcc_lo, s3, v3, vcc_lo
	global_load_u16 v6, v[2:3], off
.LBB29_48:
	s_waitcnt vmcnt(0)
	v_mul_f16_e32 v2, v11, v15
	v_mul_f16_e32 v4, v11, v17
	;; [unrolled: 1-line block ×4, first 2 shown]
	v_mul_lo_u32 v0, v0, s8
	v_fmac_f16_e32 v2, v8, v14
	v_fmac_f16_e32 v4, v8, v16
	;; [unrolled: 1-line block ×4, first 2 shown]
	s_mov_b32 s0, exec_lo
	v_cmpx_ge_u32_e64 s4, v13
	s_xor_b32 s0, exec_lo, s0
	s_cbranch_execz .LBB29_50
; %bb.49:
	v_add_nc_u32_e32 v1, s24, v12
	s_delay_alu instid0(VALU_DEP_1) | instskip(NEXT) | instid1(VALU_DEP_1)
	v_sub_nc_u32_e32 v6, v1, v10
	v_dual_mov_b32 v1, 0 :: v_dual_add_nc_u32 v0, v6, v0
	s_delay_alu instid0(VALU_DEP_1) | instskip(NEXT) | instid1(VALU_DEP_2)
	v_mov_b32_e32 v7, v1
	v_dual_mov_b32 v9, v1 :: v_dual_add_nc_u32 v8, 2, v0
	v_add_nc_u32_e32 v6, 1, v0
	v_lshlrev_b64 v[10:11], 1, v[0:1]
	v_add_nc_u32_e32 v0, 3, v0
	s_delay_alu instid0(VALU_DEP_4) | instskip(NEXT) | instid1(VALU_DEP_4)
	v_lshlrev_b64 v[8:9], 1, v[8:9]
	v_lshlrev_b64 v[6:7], 1, v[6:7]
	s_delay_alu instid0(VALU_DEP_4) | instskip(SKIP_2) | instid1(VALU_DEP_4)
	v_add_co_u32 v10, vcc_lo, s12, v10
	v_add_co_ci_u32_e32 v11, vcc_lo, s13, v11, vcc_lo
	v_lshlrev_b64 v[0:1], 1, v[0:1]
	v_add_co_u32 v6, vcc_lo, s12, v6
	v_add_co_ci_u32_e32 v7, vcc_lo, s13, v7, vcc_lo
	v_add_co_u32 v8, vcc_lo, s12, v8
	v_add_co_ci_u32_e32 v9, vcc_lo, s13, v9, vcc_lo
	;; [unrolled: 2-line block ×3, first 2 shown]
	s_clause 0x3
	global_store_b16 v[10:11], v2, off
	global_store_b16 v[6:7], v4, off
	;; [unrolled: 1-line block ×4, first 2 shown]
                                        ; implicit-def: $vgpr10
                                        ; implicit-def: $vgpr3
                                        ; implicit-def: $vgpr5
                                        ; implicit-def: $vgpr4
                                        ; implicit-def: $vgpr2
                                        ; implicit-def: $vgpr9
                                        ; implicit-def: $vgpr0
.LBB29_50:
	s_and_not1_saveexec_b32 s0, s0
	s_cbranch_execz .LBB29_54
; %bb.51:
	v_cmp_gt_u32_e32 vcc_lo, 4, v10
	s_and_b32 exec_lo, exec_lo, vcc_lo
	s_cbranch_execz .LBB29_54
; %bb.52:
	v_lshl_or_b32 v1, s21, 6, v9
	s_lshl_b32 s0, s1, 6
	v_perm_b32 v3, v3, v5, 0x5040100
	v_perm_b32 v2, v4, v2, 0x5040100
	s_mov_b32 s2, 0
	v_subrev_nc_u32_e32 v6, s0, v1
	v_add3_u32 v9, s24, v0, v1
	v_mov_b32_e32 v1, 0
	s_delay_alu instid0(VALU_DEP_3) | instskip(NEXT) | instid1(VALU_DEP_1)
	v_add_nc_u32_e32 v7, 4, v6
	v_min_u32_e32 v8, s4, v7
	s_delay_alu instid0(VALU_DEP_1) | instskip(SKIP_2) | instid1(VALU_DEP_3)
	v_sub_nc_u32_e32 v6, v6, v8
	v_sub_nc_u32_e32 v0, v7, v8
	v_subrev_nc_u32_e32 v7, s0, v9
	v_dual_mov_b32 v5, v1 :: v_dual_add_nc_u32 v6, 3, v6
	s_delay_alu instid0(VALU_DEP_3) | instskip(NEXT) | instid1(VALU_DEP_3)
	v_mov_b32_e32 v4, v0
	v_mov_b32_e32 v0, v7
	.p2align	6
.LBB29_53:                              ; =>This Inner Loop Header: Depth=1
	s_delay_alu instid0(VALU_DEP_1) | instskip(NEXT) | instid1(VALU_DEP_4)
	v_lshlrev_b64 v[7:8], 1, v[0:1]
	v_add_nc_u32_e32 v6, 1, v6
	s_delay_alu instid0(VALU_DEP_4) | instskip(SKIP_2) | instid1(VALU_DEP_4)
	v_lshlrev_b32_e32 v9, 4, v4
	v_add_co_u32 v4, vcc_lo, v4, 1
	v_add_nc_u32_e32 v0, 1, v0
	v_cmp_lt_u32_e64 s0, 2, v6
	v_add_co_u32 v7, s1, s12, v7
	v_lshrrev_b64 v[9:10], v9, v[2:3]
	v_add_co_ci_u32_e64 v8, s1, s13, v8, s1
	v_add_co_ci_u32_e32 v5, vcc_lo, 0, v5, vcc_lo
	s_or_b32 s2, s0, s2
	global_store_b16 v[7:8], v9, off
	s_and_not1_b32 exec_lo, exec_lo, s2
	s_cbranch_execnz .LBB29_53
.LBB29_54:
	s_endpgm
	.section	.rodata,"a",@progbits
	.p2align	6, 0x0
	.amdhsa_kernel Transform_H_H_010_16_16_VW_4
		.amdhsa_group_segment_fixed_size 0
		.amdhsa_private_segment_fixed_size 64
		.amdhsa_kernarg_size 344
		.amdhsa_user_sgpr_count 14
		.amdhsa_user_sgpr_dispatch_ptr 0
		.amdhsa_user_sgpr_queue_ptr 0
		.amdhsa_user_sgpr_kernarg_segment_ptr 1
		.amdhsa_user_sgpr_dispatch_id 0
		.amdhsa_user_sgpr_private_segment_size 0
		.amdhsa_wavefront_size32 1
		.amdhsa_uses_dynamic_stack 0
		.amdhsa_enable_private_segment 1
		.amdhsa_system_sgpr_workgroup_id_x 1
		.amdhsa_system_sgpr_workgroup_id_y 0
		.amdhsa_system_sgpr_workgroup_id_z 1
		.amdhsa_system_sgpr_workgroup_info 0
		.amdhsa_system_vgpr_workitem_id 0
		.amdhsa_next_free_vgpr 42
		.amdhsa_next_free_sgpr 34
		.amdhsa_reserve_vcc 1
		.amdhsa_float_round_mode_32 0
		.amdhsa_float_round_mode_16_64 0
		.amdhsa_float_denorm_mode_32 3
		.amdhsa_float_denorm_mode_16_64 3
		.amdhsa_dx10_clamp 1
		.amdhsa_ieee_mode 1
		.amdhsa_fp16_overflow 0
		.amdhsa_workgroup_processor_mode 1
		.amdhsa_memory_ordered 1
		.amdhsa_forward_progress 0
		.amdhsa_shared_vgpr_count 0
		.amdhsa_exception_fp_ieee_invalid_op 0
		.amdhsa_exception_fp_denorm_src 0
		.amdhsa_exception_fp_ieee_div_zero 0
		.amdhsa_exception_fp_ieee_overflow 0
		.amdhsa_exception_fp_ieee_underflow 0
		.amdhsa_exception_fp_ieee_inexact 0
		.amdhsa_exception_int_div_zero 0
	.end_amdhsa_kernel
	.text
.Lfunc_end29:
	.size	Transform_H_H_010_16_16_VW_4, .Lfunc_end29-Transform_H_H_010_16_16_VW_4
                                        ; -- End function
	.section	.AMDGPU.csdata,"",@progbits
; Kernel info:
; codeLenInByte = 1748
; NumSgprs: 36
; NumVgprs: 42
; ScratchSize: 64
; MemoryBound: 0
; FloatMode: 240
; IeeeMode: 1
; LDSByteSize: 0 bytes/workgroup (compile time only)
; SGPRBlocks: 4
; VGPRBlocks: 5
; NumSGPRsForWavesPerEU: 36
; NumVGPRsForWavesPerEU: 42
; Occupancy: 16
; WaveLimiterHint : 1
; COMPUTE_PGM_RSRC2:SCRATCH_EN: 1
; COMPUTE_PGM_RSRC2:USER_SGPR: 14
; COMPUTE_PGM_RSRC2:TRAP_HANDLER: 0
; COMPUTE_PGM_RSRC2:TGID_X_EN: 1
; COMPUTE_PGM_RSRC2:TGID_Y_EN: 0
; COMPUTE_PGM_RSRC2:TGID_Z_EN: 1
; COMPUTE_PGM_RSRC2:TIDIG_COMP_CNT: 0
	.text
	.protected	Transform_H_H_001_16_16_VW_1 ; -- Begin function Transform_H_H_001_16_16_VW_1
	.globl	Transform_H_H_001_16_16_VW_1
	.p2align	8
	.type	Transform_H_H_001_16_16_VW_1,@function
Transform_H_H_001_16_16_VW_1:           ; @Transform_H_H_001_16_16_VW_1
; %bb.0:
	s_mov_b64 s[22:23], s[0:1]
	s_load_b32 s0, s[0:1], 0x64
	v_mov_b32_e32 v41, v0
	s_mov_b32 s21, s15
	s_mov_b32 s24, s14
	;; [unrolled: 1-line block ×3, first 2 shown]
	s_waitcnt lgkmcnt(0)
	v_cmp_eq_u16_e64 s0, 0x100, s0
	s_delay_alu instid0(VALU_DEP_1)
	s_and_b32 vcc_lo, exec_lo, s0
	s_mov_b32 s0, -1
	s_cbranch_vccnz .LBB30_2
; %bb.1:
	s_add_u32 s8, s22, 0x58
	s_addc_u32 s9, s23, 0
	s_getpc_b64 s[0:1]
	s_add_u32 s0, s0, __PRETTY_FUNCTION__._ZN10amd_detail9transformIDF16_DF16_Lb0ELb0ELb1ELj16ELj16ELj1EEEvPT_PKS1_S4_T0_PKS5_S5_S7_jjjjjjbb@rel32@lo+4
	s_addc_u32 s1, s1, __PRETTY_FUNCTION__._ZN10amd_detail9transformIDF16_DF16_Lb0ELb0ELb1ELj16ELj16ELj1EEEvPT_PKS1_S4_T0_PKS5_S5_S7_jjjjjjbb@rel32@hi+12
	s_delay_alu instid0(SALU_CYCLE_1) | instskip(SKIP_3) | instid1(SALU_CYCLE_1)
	v_dual_mov_b32 v0, s0 :: v_dual_mov_b32 v1, s1
	s_getpc_b64 s[2:3]
	s_add_u32 s2, s2, __assert_fail@rel32@lo+4
	s_addc_u32 s3, s3, __assert_fail@rel32@hi+12
	s_swappc_b64 s[30:31], s[2:3]
	; divergent unreachable
	s_mov_b32 s0, 0
.LBB30_2:
	s_delay_alu instid0(SALU_CYCLE_1)
	s_and_not1_b32 vcc_lo, exec_lo, s0
	s_cbranch_vccnz .LBB30_13
; %bb.3:
	s_load_b256 s[0:7], s[22:23], 0x38
	s_waitcnt lgkmcnt(0)
	s_and_b32 s7, s0, 15
	s_lshr_b32 s8, s0, 4
	s_cmp_lg_u32 s7, 0
	s_cselect_b32 s7, -1, 0
	s_delay_alu instid0(SALU_CYCLE_1)
	s_cmp_lg_u32 s7, 0
	s_addc_u32 s7, s8, 0
	s_clause 0x1
	s_load_b32 s10, s[22:23], 0x18
	s_load_b64 s[8:9], s[22:23], 0x20
	v_cvt_f32_u32_e32 v0, s7
	s_sub_i32 s12, 0, s7
	s_delay_alu instid0(VALU_DEP_1) | instskip(SKIP_2) | instid1(VALU_DEP_1)
	v_rcp_iflag_f32_e32 v0, v0
	s_waitcnt_depctr 0xfff
	v_mul_f32_e32 v0, 0x4f7ffffe, v0
	v_cvt_u32_f32_e32 v0, v0
	s_delay_alu instid0(VALU_DEP_1) | instskip(SKIP_2) | instid1(VALU_DEP_2)
	v_readfirstlane_b32 s11, v0
	s_waitcnt lgkmcnt(0)
	v_mov_b32_e32 v0, s10
	s_mul_i32 s12, s12, s11
	s_delay_alu instid0(SALU_CYCLE_1) | instskip(NEXT) | instid1(SALU_CYCLE_1)
	s_mul_hi_u32 s12, s11, s12
	s_add_i32 s11, s11, s12
	s_cmp_eq_u64 s[8:9], 0
	s_mul_hi_u32 s10, s24, s11
	s_cbranch_scc1 .LBB30_5
; %bb.4:
	v_mov_b32_e32 v0, 0
	global_load_u16 v0, v0, s[8:9]
.LBB30_5:
	s_clause 0x1
	s_load_b32 s11, s[22:23], 0x28
	s_load_b64 s[8:9], s[22:23], 0x30
	s_waitcnt lgkmcnt(0)
	v_mov_b32_e32 v1, s11
	s_cmp_eq_u64 s[8:9], 0
	s_cbranch_scc1 .LBB30_7
; %bb.6:
	v_mov_b32_e32 v1, 0
	global_load_u16 v1, v1, s[8:9]
.LBB30_7:
	s_mul_i32 s8, s10, s7
	s_add_i32 s9, s10, 1
	s_sub_i32 s8, s24, s8
	v_and_b32_e32 v2, 15, v41
	s_sub_i32 s11, s8, s7
	s_cmp_ge_u32 s8, s7
	v_lshrrev_b32_e32 v4, 4, v41
	s_cselect_b32 s9, s9, s10
	s_cselect_b32 s8, s11, s8
	s_add_i32 s10, s9, 1
	s_cmp_ge_u32 s8, s7
	s_cselect_b32 s8, s10, s9
	s_delay_alu instid0(SALU_CYCLE_1) | instskip(NEXT) | instid1(SALU_CYCLE_1)
	s_mul_i32 s7, s8, s7
	s_sub_i32 s7, s24, s7
	s_delay_alu instid0(SALU_CYCLE_1) | instskip(SKIP_1) | instid1(VALU_DEP_2)
	v_lshl_or_b32 v3, s7, 4, v2
	v_lshl_add_u32 v2, s8, 4, v4
	v_cmp_gt_u32_e32 vcc_lo, s0, v3
	s_delay_alu instid0(VALU_DEP_2) | instskip(NEXT) | instid1(VALU_DEP_1)
	v_cmp_gt_u32_e64 s0, s1, v2
	s_and_b32 s0, vcc_lo, s0
	s_delay_alu instid0(SALU_CYCLE_1)
	s_and_saveexec_b32 s1, s0
	s_cbranch_execz .LBB30_13
; %bb.8:
	s_clause 0x1
	s_load_b128 s[8:11], s[22:23], 0x0
	s_load_b64 s[0:1], s[22:23], 0x10
	v_dual_mov_b32 v5, 0 :: v_dual_mov_b32 v4, 0
	s_mul_i32 s21, s21, s5
	s_waitcnt lgkmcnt(0)
	s_cmp_eq_u64 s[10:11], 0
	s_cbranch_scc1 .LBB30_10
; %bb.9:
	s_bitcmp1_b32 s6, 0
	v_mov_b32_e32 v7, 0
	s_cselect_b32 vcc_lo, -1, 0
	v_cndmask_b32_e32 v4, v2, v3, vcc_lo
	v_cndmask_b32_e32 v6, v3, v2, vcc_lo
	s_delay_alu instid0(VALU_DEP_2) | instskip(NEXT) | instid1(VALU_DEP_1)
	v_mul_lo_u32 v4, v4, s2
	v_add3_u32 v6, v6, s21, v4
	s_delay_alu instid0(VALU_DEP_1) | instskip(NEXT) | instid1(VALU_DEP_1)
	v_lshlrev_b64 v[6:7], 1, v[6:7]
	v_add_co_u32 v6, vcc_lo, s10, v6
	s_delay_alu instid0(VALU_DEP_2)
	v_add_co_ci_u32_e32 v7, vcc_lo, s11, v7, vcc_lo
	global_load_u16 v4, v[6:7], off
.LBB30_10:
	s_cmp_eq_u64 s[0:1], 0
	s_cbranch_scc1 .LBB30_12
; %bb.11:
	s_load_b32 s2, s[22:23], 0x50
	v_mov_b32_e32 v6, 0
	s_waitcnt lgkmcnt(0)
	s_bitcmp1_b32 s2, 8
	s_cselect_b32 vcc_lo, -1, 0
	v_cndmask_b32_e32 v5, v2, v3, vcc_lo
	v_cndmask_b32_e32 v7, v3, v2, vcc_lo
	s_delay_alu instid0(VALU_DEP_2) | instskip(NEXT) | instid1(VALU_DEP_1)
	v_mul_lo_u32 v5, v5, s3
	v_add3_u32 v5, v7, s21, v5
	s_delay_alu instid0(VALU_DEP_1) | instskip(NEXT) | instid1(VALU_DEP_1)
	v_lshlrev_b64 v[5:6], 1, v[5:6]
	v_add_co_u32 v5, vcc_lo, s0, v5
	s_delay_alu instid0(VALU_DEP_2)
	v_add_co_ci_u32_e32 v6, vcc_lo, s1, v6, vcc_lo
	global_load_u16 v5, v[5:6], off
.LBB30_12:
	v_mul_lo_u32 v6, v3, s4
	v_mov_b32_e32 v3, 0
	s_waitcnt vmcnt(0)
	v_mul_f16_e32 v5, v1, v5
	s_delay_alu instid0(VALU_DEP_1) | instskip(NEXT) | instid1(VALU_DEP_4)
	v_fmac_f16_e32 v5, v0, v4
	v_add3_u32 v2, v2, s21, v6
	s_delay_alu instid0(VALU_DEP_1) | instskip(NEXT) | instid1(VALU_DEP_1)
	v_lshlrev_b64 v[1:2], 1, v[2:3]
	v_add_co_u32 v0, vcc_lo, s8, v1
	s_delay_alu instid0(VALU_DEP_2)
	v_add_co_ci_u32_e32 v1, vcc_lo, s9, v2, vcc_lo
	global_store_b16 v[0:1], v5, off
.LBB30_13:
	s_endpgm
	.section	.rodata,"a",@progbits
	.p2align	6, 0x0
	.amdhsa_kernel Transform_H_H_001_16_16_VW_1
		.amdhsa_group_segment_fixed_size 0
		.amdhsa_private_segment_fixed_size 64
		.amdhsa_kernarg_size 344
		.amdhsa_user_sgpr_count 14
		.amdhsa_user_sgpr_dispatch_ptr 0
		.amdhsa_user_sgpr_queue_ptr 0
		.amdhsa_user_sgpr_kernarg_segment_ptr 1
		.amdhsa_user_sgpr_dispatch_id 0
		.amdhsa_user_sgpr_private_segment_size 0
		.amdhsa_wavefront_size32 1
		.amdhsa_uses_dynamic_stack 0
		.amdhsa_enable_private_segment 1
		.amdhsa_system_sgpr_workgroup_id_x 1
		.amdhsa_system_sgpr_workgroup_id_y 0
		.amdhsa_system_sgpr_workgroup_id_z 1
		.amdhsa_system_sgpr_workgroup_info 0
		.amdhsa_system_vgpr_workitem_id 0
		.amdhsa_next_free_vgpr 42
		.amdhsa_next_free_sgpr 34
		.amdhsa_reserve_vcc 1
		.amdhsa_float_round_mode_32 0
		.amdhsa_float_round_mode_16_64 0
		.amdhsa_float_denorm_mode_32 3
		.amdhsa_float_denorm_mode_16_64 3
		.amdhsa_dx10_clamp 1
		.amdhsa_ieee_mode 1
		.amdhsa_fp16_overflow 0
		.amdhsa_workgroup_processor_mode 1
		.amdhsa_memory_ordered 1
		.amdhsa_forward_progress 0
		.amdhsa_shared_vgpr_count 0
		.amdhsa_exception_fp_ieee_invalid_op 0
		.amdhsa_exception_fp_denorm_src 0
		.amdhsa_exception_fp_ieee_div_zero 0
		.amdhsa_exception_fp_ieee_overflow 0
		.amdhsa_exception_fp_ieee_underflow 0
		.amdhsa_exception_fp_ieee_inexact 0
		.amdhsa_exception_int_div_zero 0
	.end_amdhsa_kernel
	.text
.Lfunc_end30:
	.size	Transform_H_H_001_16_16_VW_1, .Lfunc_end30-Transform_H_H_001_16_16_VW_1
                                        ; -- End function
	.section	.AMDGPU.csdata,"",@progbits
; Kernel info:
; codeLenInByte = 744
; NumSgprs: 36
; NumVgprs: 42
; ScratchSize: 64
; MemoryBound: 0
; FloatMode: 240
; IeeeMode: 1
; LDSByteSize: 0 bytes/workgroup (compile time only)
; SGPRBlocks: 4
; VGPRBlocks: 5
; NumSGPRsForWavesPerEU: 36
; NumVGPRsForWavesPerEU: 42
; Occupancy: 16
; WaveLimiterHint : 1
; COMPUTE_PGM_RSRC2:SCRATCH_EN: 1
; COMPUTE_PGM_RSRC2:USER_SGPR: 14
; COMPUTE_PGM_RSRC2:TRAP_HANDLER: 0
; COMPUTE_PGM_RSRC2:TGID_X_EN: 1
; COMPUTE_PGM_RSRC2:TGID_Y_EN: 0
; COMPUTE_PGM_RSRC2:TGID_Z_EN: 1
; COMPUTE_PGM_RSRC2:TIDIG_COMP_CNT: 0
	.text
	.protected	Transform_H_H_001_16_16_VW_4 ; -- Begin function Transform_H_H_001_16_16_VW_4
	.globl	Transform_H_H_001_16_16_VW_4
	.p2align	8
	.type	Transform_H_H_001_16_16_VW_4,@function
Transform_H_H_001_16_16_VW_4:           ; @Transform_H_H_001_16_16_VW_4
; %bb.0:
	s_mov_b64 s[22:23], s[0:1]
	s_load_b32 s0, s[0:1], 0x64
	v_mov_b32_e32 v41, v0
	s_mov_b32 s24, s15
	s_mov_b32 s21, s14
	;; [unrolled: 1-line block ×3, first 2 shown]
	s_waitcnt lgkmcnt(0)
	v_cmp_eq_u16_e64 s0, 0x100, s0
	s_delay_alu instid0(VALU_DEP_1)
	s_and_b32 vcc_lo, exec_lo, s0
	s_mov_b32 s0, -1
	s_cbranch_vccnz .LBB31_2
; %bb.1:
	s_add_u32 s8, s22, 0x58
	s_addc_u32 s9, s23, 0
	s_getpc_b64 s[0:1]
	s_add_u32 s0, s0, __PRETTY_FUNCTION__._ZN10amd_detail9transformIDF16_DF16_Lb0ELb0ELb1ELj16ELj16ELj4EEEvPT_PKS1_S4_T0_PKS5_S5_S7_jjjjjjbb@rel32@lo+4
	s_addc_u32 s1, s1, __PRETTY_FUNCTION__._ZN10amd_detail9transformIDF16_DF16_Lb0ELb0ELb1ELj16ELj16ELj4EEEvPT_PKS1_S4_T0_PKS5_S5_S7_jjjjjjbb@rel32@hi+12
	s_delay_alu instid0(SALU_CYCLE_1) | instskip(SKIP_3) | instid1(SALU_CYCLE_1)
	v_dual_mov_b32 v0, s0 :: v_dual_mov_b32 v1, s1
	s_getpc_b64 s[2:3]
	s_add_u32 s2, s2, __assert_fail@rel32@lo+4
	s_addc_u32 s3, s3, __assert_fail@rel32@hi+12
	s_swappc_b64 s[30:31], s[2:3]
	; divergent unreachable
	s_mov_b32 s0, 0
.LBB31_2:
	s_delay_alu instid0(SALU_CYCLE_1)
	s_and_not1_b32 vcc_lo, exec_lo, s0
	s_cbranch_vccnz .LBB31_54
; %bb.3:
	s_load_b128 s[0:3], s[22:23], 0x38
	s_waitcnt lgkmcnt(0)
	s_and_b32 s4, s0, 15
	s_lshr_b32 s5, s0, 4
	s_cmp_lg_u32 s4, 0
	s_cselect_b32 s4, -1, 0
	s_delay_alu instid0(SALU_CYCLE_1)
	s_cmp_lg_u32 s4, 0
	s_addc_u32 s6, s5, 0
	s_clause 0x1
	s_load_b32 s7, s[22:23], 0x18
	s_load_b64 s[4:5], s[22:23], 0x20
	v_cvt_f32_u32_e32 v0, s6
	s_sub_i32 s9, 0, s6
	s_delay_alu instid0(VALU_DEP_1) | instskip(SKIP_4) | instid1(VALU_DEP_2)
	v_rcp_iflag_f32_e32 v0, v0
	s_waitcnt_depctr 0xfff
	v_mul_f32_e32 v0, 0x4f7ffffe, v0
	s_waitcnt lgkmcnt(0)
	v_mov_b32_e32 v8, s7
	v_cvt_u32_f32_e32 v0, v0
	s_delay_alu instid0(VALU_DEP_1) | instskip(NEXT) | instid1(VALU_DEP_1)
	v_readfirstlane_b32 s8, v0
	s_mul_i32 s9, s9, s8
	s_delay_alu instid0(SALU_CYCLE_1) | instskip(NEXT) | instid1(SALU_CYCLE_1)
	s_mul_hi_u32 s9, s8, s9
	s_add_i32 s8, s8, s9
	s_cmp_eq_u64 s[4:5], 0
	s_mul_hi_u32 s7, s21, s8
	s_cbranch_scc1 .LBB31_5
; %bb.4:
	v_mov_b32_e32 v0, 0
	global_load_u16 v8, v0, s[4:5]
.LBB31_5:
	s_clause 0x1
	s_load_b32 s8, s[22:23], 0x28
	s_load_b64 s[4:5], s[22:23], 0x30
	s_waitcnt lgkmcnt(0)
	v_mov_b32_e32 v10, s8
	s_cmp_eq_u64 s[4:5], 0
	s_cbranch_scc1 .LBB31_7
; %bb.6:
	v_mov_b32_e32 v0, 0
	global_load_u16 v10, v0, s[4:5]
.LBB31_7:
	s_mul_i32 s4, s7, s6
	s_add_i32 s5, s7, 1
	s_sub_i32 s4, s21, s4
	v_and_b32_e32 v6, 15, v41
	s_sub_i32 s8, s4, s6
	s_cmp_ge_u32 s4, s6
	s_cselect_b32 s5, s5, s7
	s_cselect_b32 s4, s8, s4
	s_add_i32 s7, s5, 1
	s_cmp_ge_u32 s4, s6
	s_cselect_b32 s12, s7, s5
	s_delay_alu instid0(SALU_CYCLE_1) | instskip(NEXT) | instid1(SALU_CYCLE_1)
	s_mul_i32 s14, s12, s6
	s_sub_i32 s4, s21, s14
	s_delay_alu instid0(SALU_CYCLE_1) | instskip(NEXT) | instid1(VALU_DEP_1)
	v_lshl_or_b32 v2, s4, 4, v6
	v_cmp_gt_u32_e32 vcc_lo, s0, v2
	s_and_saveexec_b32 s0, vcc_lo
	s_cbranch_execz .LBB31_54
; %bb.8:
	v_lshrrev_b32_e32 v0, 2, v41
	s_clause 0x1
	s_load_b128 s[8:11], s[22:23], 0x48
	s_load_b128 s[4:7], s[22:23], 0x0
	s_waitcnt lgkmcnt(0)
	s_lshl_b32 s11, s12, 6
	s_load_b64 s[12:13], s[22:23], 0x10
	v_mov_b32_e32 v11, 0
	v_dual_mov_b32 v12, 0 :: v_dual_and_b32 v7, 0xfc, v0
	s_delay_alu instid0(VALU_DEP_1) | instskip(NEXT) | instid1(VALU_DEP_1)
	v_add_nc_u32_e32 v1, s11, v7
	v_add_nc_u32_e32 v9, 4, v1
	v_mad_u64_u32 v[3:4], null, v2, s2, v[1:2]
	s_bitcmp1_b32 s10, 0
	s_delay_alu instid0(VALU_DEP_2)
	v_sub_nc_u32_e64 v0, v9, s1 clamp
	s_cselect_b32 vcc_lo, -1, 0
	s_cmp_lg_u64 s[6:7], 0
	s_mul_i32 s24, s24, s9
	s_cselect_b32 s10, -1, 0
	v_sub_nc_u32_e32 v15, v1, v0
	v_sub_nc_u32_e32 v13, v3, v0
	s_cmp_eq_u64 s[6:7], 0
	s_cbranch_scc1 .LBB31_10
; %bb.9:
	s_delay_alu instid0(VALU_DEP_2) | instskip(NEXT) | instid1(VALU_DEP_1)
	v_mad_u64_u32 v[3:4], null, v15, s2, v[2:3]
	v_dual_mov_b32 v4, 0 :: v_dual_cndmask_b32 v3, v3, v13
	s_delay_alu instid0(VALU_DEP_1) | instskip(NEXT) | instid1(VALU_DEP_1)
	v_add_nc_u32_e32 v3, s24, v3
	v_lshlrev_b64 v[3:4], 1, v[3:4]
	s_delay_alu instid0(VALU_DEP_1) | instskip(NEXT) | instid1(VALU_DEP_1)
	v_add_co_u32 v3, s0, s6, v3
	v_add_co_ci_u32_e64 v4, s0, s7, v4, s0
	global_load_u16 v11, v[3:4], off
.LBB31_10:
	s_load_b32 s0, s[22:23], 0x50
	v_mad_u64_u32 v[3:4], null, v2, s3, v[1:2]
	s_xor_b32 s15, vcc_lo, -1
	s_delay_alu instid0(VALU_DEP_1)
	v_sub_nc_u32_e32 v14, v3, v0
	s_waitcnt lgkmcnt(0)
	s_bitcmp1_b32 s0, 8
	s_cselect_b32 s0, -1, 0
	s_cmp_lg_u64 s[12:13], 0
	s_cselect_b32 s9, -1, 0
	s_cmp_eq_u64 s[12:13], 0
	s_cbranch_scc1 .LBB31_12
; %bb.11:
	v_mad_u64_u32 v[3:4], null, v15, s3, v[2:3]
	s_delay_alu instid0(VALU_DEP_1) | instskip(NEXT) | instid1(VALU_DEP_1)
	v_cndmask_b32_e64 v3, v3, v14, s0
	v_dual_mov_b32 v4, 0 :: v_dual_add_nc_u32 v3, s24, v3
	s_delay_alu instid0(VALU_DEP_1) | instskip(NEXT) | instid1(VALU_DEP_1)
	v_lshlrev_b64 v[3:4], 1, v[3:4]
	v_add_co_u32 v3, vcc_lo, s12, v3
	s_delay_alu instid0(VALU_DEP_2)
	v_add_co_ci_u32_e32 v4, vcc_lo, s13, v4, vcc_lo
	global_load_u16 v12, v[3:4], off
.LBB31_12:
	v_cndmask_b32_e64 v18, 0, 1, s15
	s_and_not1_b32 vcc_lo, exec_lo, s15
	s_cbranch_vccnz .LBB31_14
; %bb.13:
	v_mul_lo_u32 v3, s2, v15
	s_delay_alu instid0(VALU_DEP_1)
	v_add3_u32 v3, v3, s2, v2
	s_xor_b32 s0, s0, -1
	s_cbranch_execz .LBB31_15
	s_branch .LBB31_16
.LBB31_14:
                                        ; implicit-def: $vgpr3
	s_xor_b32 s0, s0, -1
.LBB31_15:
	v_add_nc_u32_e32 v3, 1, v13
.LBB31_16:
	v_cndmask_b32_e64 v19, 0, 1, s0
	s_and_not1_b32 vcc_lo, exec_lo, s0
	s_cbranch_vccnz .LBB31_18
; %bb.17:
	v_mul_lo_u32 v4, s3, v15
	s_delay_alu instid0(VALU_DEP_1)
	v_add3_u32 v4, v4, s3, v2
	s_cbranch_execz .LBB31_19
	s_branch .LBB31_20
.LBB31_18:
                                        ; implicit-def: $vgpr4
.LBB31_19:
	v_add_nc_u32_e32 v4, 1, v14
.LBB31_20:
	v_cndmask_b32_e64 v20, 0, 1, s10
	v_dual_mov_b32 v17, 0 :: v_dual_mov_b32 v16, 0
	s_and_not1_b32 vcc_lo, exec_lo, s10
	s_cbranch_vccnz .LBB31_22
; %bb.21:
	v_dual_mov_b32 v22, 0 :: v_dual_add_nc_u32 v21, s24, v3
	s_delay_alu instid0(VALU_DEP_1) | instskip(NEXT) | instid1(VALU_DEP_1)
	v_lshlrev_b64 v[21:22], 1, v[21:22]
	v_add_co_u32 v21, vcc_lo, s6, v21
	s_delay_alu instid0(VALU_DEP_2)
	v_add_co_ci_u32_e32 v22, vcc_lo, s7, v22, vcc_lo
	global_load_u16 v16, v[21:22], off
.LBB31_22:
	v_cndmask_b32_e64 v21, 0, 1, s9
	s_and_not1_b32 vcc_lo, exec_lo, s9
	s_cbranch_vccnz .LBB31_24
; %bb.23:
	v_dual_mov_b32 v4, 0 :: v_dual_add_nc_u32 v3, s24, v4
	s_delay_alu instid0(VALU_DEP_1) | instskip(NEXT) | instid1(VALU_DEP_1)
	v_lshlrev_b64 v[3:4], 1, v[3:4]
	v_add_co_u32 v3, vcc_lo, s12, v3
	s_delay_alu instid0(VALU_DEP_2)
	v_add_co_ci_u32_e32 v4, vcc_lo, s13, v4, vcc_lo
	global_load_u16 v17, v[3:4], off
.LBB31_24:
	v_cmp_ne_u32_e32 vcc_lo, 1, v18
	v_add_nc_u32_e32 v22, 2, v15
	s_cbranch_vccnz .LBB31_26
; %bb.25:
	s_delay_alu instid0(VALU_DEP_1)
	v_mad_u64_u32 v[3:4], null, v22, s2, v[2:3]
	s_cbranch_execz .LBB31_27
	s_branch .LBB31_28
.LBB31_26:
                                        ; implicit-def: $vgpr3
.LBB31_27:
	v_add_nc_u32_e32 v3, 2, v13
.LBB31_28:
	v_cmp_ne_u32_e32 vcc_lo, 1, v19
	s_cbranch_vccnz .LBB31_30
; %bb.29:
	s_delay_alu instid0(VALU_DEP_2)
	v_mad_u64_u32 v[4:5], null, v22, s3, v[2:3]
	s_cbranch_execz .LBB31_31
	s_branch .LBB31_32
.LBB31_30:
                                        ; implicit-def: $vgpr4
.LBB31_31:
	v_add_nc_u32_e32 v4, 2, v14
.LBB31_32:
	v_cmp_ne_u32_e32 vcc_lo, 1, v20
	v_dual_mov_b32 v23, 0 :: v_dual_mov_b32 v22, 0
	s_cbranch_vccnz .LBB31_34
; %bb.33:
	v_dual_mov_b32 v25, 0 :: v_dual_add_nc_u32 v24, s24, v3
	s_delay_alu instid0(VALU_DEP_1) | instskip(NEXT) | instid1(VALU_DEP_1)
	v_lshlrev_b64 v[24:25], 1, v[24:25]
	v_add_co_u32 v24, vcc_lo, s6, v24
	s_delay_alu instid0(VALU_DEP_2)
	v_add_co_ci_u32_e32 v25, vcc_lo, s7, v25, vcc_lo
	global_load_u16 v22, v[24:25], off
.LBB31_34:
	v_cmp_ne_u32_e32 vcc_lo, 1, v21
	s_cbranch_vccnz .LBB31_36
; %bb.35:
	v_dual_mov_b32 v4, 0 :: v_dual_add_nc_u32 v3, s24, v4
	s_delay_alu instid0(VALU_DEP_1) | instskip(NEXT) | instid1(VALU_DEP_1)
	v_lshlrev_b64 v[3:4], 1, v[3:4]
	v_add_co_u32 v3, vcc_lo, s12, v3
	s_delay_alu instid0(VALU_DEP_2)
	v_add_co_ci_u32_e32 v4, vcc_lo, s13, v4, vcc_lo
	global_load_u16 v23, v[3:4], off
.LBB31_36:
	v_cmp_ne_u32_e32 vcc_lo, 1, v18
	v_add_nc_u32_e32 v15, 3, v15
	s_cbranch_vccnz .LBB31_38
; %bb.37:
	s_delay_alu instid0(VALU_DEP_1)
	v_mad_u64_u32 v[3:4], null, v15, s2, v[2:3]
	s_cbranch_execz .LBB31_39
	s_branch .LBB31_40
.LBB31_38:
                                        ; implicit-def: $vgpr3
.LBB31_39:
	v_add_nc_u32_e32 v3, 3, v13
.LBB31_40:
	v_cmp_ne_u32_e32 vcc_lo, 1, v19
	s_cbranch_vccnz .LBB31_42
; %bb.41:
	s_delay_alu instid0(VALU_DEP_2)
	v_mad_u64_u32 v[4:5], null, v15, s3, v[2:3]
	s_cbranch_execz .LBB31_43
	s_branch .LBB31_44
.LBB31_42:
                                        ; implicit-def: $vgpr4
.LBB31_43:
	v_add_nc_u32_e32 v4, 3, v14
.LBB31_44:
	v_cmp_ne_u32_e32 vcc_lo, 1, v20
	v_dual_mov_b32 v14, 0 :: v_dual_mov_b32 v13, 0
	s_cbranch_vccnz .LBB31_46
; %bb.45:
	v_dual_mov_b32 v19, 0 :: v_dual_add_nc_u32 v18, s24, v3
	s_delay_alu instid0(VALU_DEP_1) | instskip(NEXT) | instid1(VALU_DEP_1)
	v_lshlrev_b64 v[18:19], 1, v[18:19]
	v_add_co_u32 v18, vcc_lo, s6, v18
	s_delay_alu instid0(VALU_DEP_2)
	v_add_co_ci_u32_e32 v19, vcc_lo, s7, v19, vcc_lo
	global_load_u16 v13, v[18:19], off
.LBB31_46:
	v_cmp_ne_u32_e32 vcc_lo, 1, v21
	s_cbranch_vccnz .LBB31_48
; %bb.47:
	v_dual_mov_b32 v4, 0 :: v_dual_add_nc_u32 v3, s24, v4
	s_delay_alu instid0(VALU_DEP_1) | instskip(NEXT) | instid1(VALU_DEP_1)
	v_lshlrev_b64 v[3:4], 1, v[3:4]
	v_add_co_u32 v3, vcc_lo, s12, v3
	s_delay_alu instid0(VALU_DEP_2)
	v_add_co_ci_u32_e32 v4, vcc_lo, s13, v4, vcc_lo
	global_load_u16 v14, v[3:4], off
.LBB31_48:
	s_waitcnt vmcnt(0)
	v_mul_f16_e32 v4, v10, v12
	v_mul_f16_e32 v5, v10, v17
	v_mul_f16_e32 v3, v10, v23
	v_mul_f16_e32 v10, v10, v14
	s_mov_b32 s0, exec_lo
	v_fmac_f16_e32 v4, v8, v11
	v_fmac_f16_e32 v5, v8, v16
	;; [unrolled: 1-line block ×4, first 2 shown]
	v_cmpx_ge_u32_e64 s1, v9
	s_xor_b32 s0, exec_lo, s0
	s_cbranch_execz .LBB31_50
; %bb.49:
	v_mul_lo_u32 v2, v2, s8
	s_delay_alu instid0(VALU_DEP_1) | instskip(NEXT) | instid1(VALU_DEP_1)
	v_add3_u32 v2, v1, s24, v2
	v_sub_nc_u32_e32 v0, v2, v0
	s_delay_alu instid0(VALU_DEP_1) | instskip(NEXT) | instid1(VALU_DEP_1)
	v_dual_mov_b32 v1, 0 :: v_dual_add_nc_u32 v6, 1, v0
	v_dual_mov_b32 v7, v1 :: v_dual_add_nc_u32 v8, 2, v0
	v_lshlrev_b64 v[11:12], 1, v[0:1]
	v_dual_mov_b32 v9, v1 :: v_dual_add_nc_u32 v0, 3, v0
	s_delay_alu instid0(VALU_DEP_3) | instskip(NEXT) | instid1(VALU_DEP_2)
	v_lshlrev_b64 v[6:7], 1, v[6:7]
	v_lshlrev_b64 v[8:9], 1, v[8:9]
	s_delay_alu instid0(VALU_DEP_4)
	v_add_co_u32 v11, vcc_lo, s4, v11
	v_add_co_ci_u32_e32 v12, vcc_lo, s5, v12, vcc_lo
	v_lshlrev_b64 v[0:1], 1, v[0:1]
	v_add_co_u32 v6, vcc_lo, s4, v6
	v_add_co_ci_u32_e32 v7, vcc_lo, s5, v7, vcc_lo
	v_add_co_u32 v8, vcc_lo, s4, v8
	v_add_co_ci_u32_e32 v9, vcc_lo, s5, v9, vcc_lo
	;; [unrolled: 2-line block ×3, first 2 shown]
	s_clause 0x3
	global_store_b16 v[11:12], v4, off
	global_store_b16 v[6:7], v5, off
	;; [unrolled: 1-line block ×4, first 2 shown]
                                        ; implicit-def: $vgpr6
                                        ; implicit-def: $vgpr7
                                        ; implicit-def: $vgpr1
                                        ; implicit-def: $vgpr9
                                        ; implicit-def: $vgpr0
                                        ; implicit-def: $vgpr4
                                        ; implicit-def: $vgpr5
                                        ; implicit-def: $vgpr3
                                        ; implicit-def: $vgpr10
.LBB31_50:
	s_and_not1_saveexec_b32 s0, s0
	s_cbranch_execz .LBB31_54
; %bb.51:
	v_cmp_gt_u32_e32 vcc_lo, 4, v0
	s_and_b32 exec_lo, exec_lo, vcc_lo
	s_cbranch_execz .LBB31_54
; %bb.52:
	v_lshl_or_b32 v2, s21, 4, v6
	s_lshl_b32 s0, s14, 4
	v_min_u32_e32 v6, s1, v9
	s_add_i32 s11, s11, s24
	v_perm_b32 v3, v10, v3, 0x5040100
	v_subrev_nc_u32_e32 v2, s0, v2
	s_mov_b32 s2, 0
	v_sub_nc_u32_e32 v6, v1, v6
	v_mov_b32_e32 v1, 0
	s_delay_alu instid0(VALU_DEP_3) | instskip(NEXT) | instid1(VALU_DEP_3)
	v_mul_lo_u32 v2, s8, v2
	v_add_nc_u32_e32 v6, 3, v6
	s_delay_alu instid0(VALU_DEP_2) | instskip(SKIP_2) | instid1(VALU_DEP_3)
	v_add3_u32 v7, s11, v2, v7
	v_perm_b32 v2, v5, v4, 0x5040100
	v_dual_mov_b32 v5, v1 :: v_dual_mov_b32 v4, v0
	v_mov_b32_e32 v0, v7
	.p2align	6
.LBB31_53:                              ; =>This Inner Loop Header: Depth=1
	s_delay_alu instid0(VALU_DEP_1) | instskip(SKIP_1) | instid1(VALU_DEP_4)
	v_lshlrev_b64 v[7:8], 1, v[0:1]
	v_add_nc_u32_e32 v6, 1, v6
	v_lshlrev_b32_e32 v9, 4, v4
	v_add_co_u32 v4, vcc_lo, v4, 1
	v_add_nc_u32_e32 v0, 1, v0
	s_delay_alu instid0(VALU_DEP_4)
	v_cmp_lt_u32_e64 s0, 2, v6
	v_add_co_u32 v7, s1, s4, v7
	v_lshrrev_b64 v[9:10], v9, v[2:3]
	v_add_co_ci_u32_e64 v8, s1, s5, v8, s1
	v_add_co_ci_u32_e32 v5, vcc_lo, 0, v5, vcc_lo
	s_or_b32 s2, s0, s2
	global_store_b16 v[7:8], v9, off
	s_and_not1_b32 exec_lo, exec_lo, s2
	s_cbranch_execnz .LBB31_53
.LBB31_54:
	s_endpgm
	.section	.rodata,"a",@progbits
	.p2align	6, 0x0
	.amdhsa_kernel Transform_H_H_001_16_16_VW_4
		.amdhsa_group_segment_fixed_size 0
		.amdhsa_private_segment_fixed_size 64
		.amdhsa_kernarg_size 344
		.amdhsa_user_sgpr_count 14
		.amdhsa_user_sgpr_dispatch_ptr 0
		.amdhsa_user_sgpr_queue_ptr 0
		.amdhsa_user_sgpr_kernarg_segment_ptr 1
		.amdhsa_user_sgpr_dispatch_id 0
		.amdhsa_user_sgpr_private_segment_size 0
		.amdhsa_wavefront_size32 1
		.amdhsa_uses_dynamic_stack 0
		.amdhsa_enable_private_segment 1
		.amdhsa_system_sgpr_workgroup_id_x 1
		.amdhsa_system_sgpr_workgroup_id_y 0
		.amdhsa_system_sgpr_workgroup_id_z 1
		.amdhsa_system_sgpr_workgroup_info 0
		.amdhsa_system_vgpr_workitem_id 0
		.amdhsa_next_free_vgpr 42
		.amdhsa_next_free_sgpr 34
		.amdhsa_reserve_vcc 1
		.amdhsa_float_round_mode_32 0
		.amdhsa_float_round_mode_16_64 0
		.amdhsa_float_denorm_mode_32 3
		.amdhsa_float_denorm_mode_16_64 3
		.amdhsa_dx10_clamp 1
		.amdhsa_ieee_mode 1
		.amdhsa_fp16_overflow 0
		.amdhsa_workgroup_processor_mode 1
		.amdhsa_memory_ordered 1
		.amdhsa_forward_progress 0
		.amdhsa_shared_vgpr_count 0
		.amdhsa_exception_fp_ieee_invalid_op 0
		.amdhsa_exception_fp_denorm_src 0
		.amdhsa_exception_fp_ieee_div_zero 0
		.amdhsa_exception_fp_ieee_overflow 0
		.amdhsa_exception_fp_ieee_underflow 0
		.amdhsa_exception_fp_ieee_inexact 0
		.amdhsa_exception_int_div_zero 0
	.end_amdhsa_kernel
	.text
.Lfunc_end31:
	.size	Transform_H_H_001_16_16_VW_4, .Lfunc_end31-Transform_H_H_001_16_16_VW_4
                                        ; -- End function
	.section	.AMDGPU.csdata,"",@progbits
; Kernel info:
; codeLenInByte = 1768
; NumSgprs: 36
; NumVgprs: 42
; ScratchSize: 64
; MemoryBound: 0
; FloatMode: 240
; IeeeMode: 1
; LDSByteSize: 0 bytes/workgroup (compile time only)
; SGPRBlocks: 4
; VGPRBlocks: 5
; NumSGPRsForWavesPerEU: 36
; NumVGPRsForWavesPerEU: 42
; Occupancy: 16
; WaveLimiterHint : 1
; COMPUTE_PGM_RSRC2:SCRATCH_EN: 1
; COMPUTE_PGM_RSRC2:USER_SGPR: 14
; COMPUTE_PGM_RSRC2:TRAP_HANDLER: 0
; COMPUTE_PGM_RSRC2:TGID_X_EN: 1
; COMPUTE_PGM_RSRC2:TGID_Y_EN: 0
; COMPUTE_PGM_RSRC2:TGID_Z_EN: 1
; COMPUTE_PGM_RSRC2:TIDIG_COMP_CNT: 0
	.text
	.protected	Transform_H_H_000_16_16_VW_1 ; -- Begin function Transform_H_H_000_16_16_VW_1
	.globl	Transform_H_H_000_16_16_VW_1
	.p2align	8
	.type	Transform_H_H_000_16_16_VW_1,@function
Transform_H_H_000_16_16_VW_1:           ; @Transform_H_H_000_16_16_VW_1
; %bb.0:
	s_mov_b64 s[22:23], s[0:1]
	s_load_b32 s0, s[0:1], 0x64
	v_mov_b32_e32 v41, v0
	s_mov_b32 s21, s15
	s_mov_b32 s24, s14
	;; [unrolled: 1-line block ×3, first 2 shown]
	s_waitcnt lgkmcnt(0)
	v_cmp_eq_u16_e64 s0, 0x100, s0
	s_delay_alu instid0(VALU_DEP_1)
	s_and_b32 vcc_lo, exec_lo, s0
	s_mov_b32 s0, -1
	s_cbranch_vccnz .LBB32_2
; %bb.1:
	s_add_u32 s8, s22, 0x58
	s_addc_u32 s9, s23, 0
	s_getpc_b64 s[0:1]
	s_add_u32 s0, s0, __PRETTY_FUNCTION__._ZN10amd_detail9transformIDF16_DF16_Lb0ELb0ELb0ELj16ELj16ELj1EEEvPT_PKS1_S4_T0_PKS5_S5_S7_jjjjjjbb@rel32@lo+4
	s_addc_u32 s1, s1, __PRETTY_FUNCTION__._ZN10amd_detail9transformIDF16_DF16_Lb0ELb0ELb0ELj16ELj16ELj1EEEvPT_PKS1_S4_T0_PKS5_S5_S7_jjjjjjbb@rel32@hi+12
	s_delay_alu instid0(SALU_CYCLE_1) | instskip(SKIP_3) | instid1(SALU_CYCLE_1)
	v_dual_mov_b32 v0, s0 :: v_dual_mov_b32 v1, s1
	s_getpc_b64 s[2:3]
	s_add_u32 s2, s2, __assert_fail@rel32@lo+4
	s_addc_u32 s3, s3, __assert_fail@rel32@hi+12
	s_swappc_b64 s[30:31], s[2:3]
	; divergent unreachable
	s_mov_b32 s0, 0
.LBB32_2:
	s_delay_alu instid0(SALU_CYCLE_1)
	s_and_not1_b32 vcc_lo, exec_lo, s0
	s_cbranch_vccnz .LBB32_13
; %bb.3:
	s_load_b256 s[0:7], s[22:23], 0x38
	s_waitcnt lgkmcnt(0)
	s_and_b32 s7, s0, 15
	s_lshr_b32 s8, s0, 4
	s_cmp_lg_u32 s7, 0
	s_cselect_b32 s7, -1, 0
	s_delay_alu instid0(SALU_CYCLE_1)
	s_cmp_lg_u32 s7, 0
	s_addc_u32 s7, s8, 0
	s_clause 0x1
	s_load_b32 s10, s[22:23], 0x18
	s_load_b64 s[8:9], s[22:23], 0x20
	v_cvt_f32_u32_e32 v0, s7
	s_sub_i32 s12, 0, s7
	s_delay_alu instid0(VALU_DEP_1) | instskip(SKIP_2) | instid1(VALU_DEP_1)
	v_rcp_iflag_f32_e32 v0, v0
	s_waitcnt_depctr 0xfff
	v_mul_f32_e32 v0, 0x4f7ffffe, v0
	v_cvt_u32_f32_e32 v0, v0
	s_delay_alu instid0(VALU_DEP_1) | instskip(SKIP_2) | instid1(VALU_DEP_2)
	v_readfirstlane_b32 s11, v0
	s_waitcnt lgkmcnt(0)
	v_mov_b32_e32 v0, s10
	s_mul_i32 s12, s12, s11
	s_delay_alu instid0(SALU_CYCLE_1) | instskip(NEXT) | instid1(SALU_CYCLE_1)
	s_mul_hi_u32 s12, s11, s12
	s_add_i32 s11, s11, s12
	s_cmp_eq_u64 s[8:9], 0
	s_mul_hi_u32 s10, s24, s11
	s_cbranch_scc1 .LBB32_5
; %bb.4:
	v_mov_b32_e32 v0, 0
	global_load_u16 v0, v0, s[8:9]
.LBB32_5:
	s_clause 0x1
	s_load_b32 s11, s[22:23], 0x28
	s_load_b64 s[8:9], s[22:23], 0x30
	s_waitcnt lgkmcnt(0)
	v_mov_b32_e32 v1, s11
	s_cmp_eq_u64 s[8:9], 0
	s_cbranch_scc1 .LBB32_7
; %bb.6:
	v_mov_b32_e32 v1, 0
	global_load_u16 v1, v1, s[8:9]
.LBB32_7:
	s_mul_i32 s8, s10, s7
	s_add_i32 s9, s10, 1
	s_sub_i32 s8, s24, s8
	v_and_b32_e32 v2, 15, v41
	s_sub_i32 s11, s8, s7
	s_cmp_ge_u32 s8, s7
	v_lshrrev_b32_e32 v3, 4, v41
	s_cselect_b32 s9, s9, s10
	s_cselect_b32 s8, s11, s8
	s_add_i32 s10, s9, 1
	s_cmp_ge_u32 s8, s7
	s_cselect_b32 s8, s10, s9
	s_delay_alu instid0(SALU_CYCLE_1) | instskip(SKIP_2) | instid1(SALU_CYCLE_1)
	s_mul_i32 s7, s8, s7
	v_lshl_add_u32 v3, s8, 4, v3
	s_sub_i32 s7, s24, s7
	v_lshl_or_b32 v2, s7, 4, v2
	s_delay_alu instid0(VALU_DEP_1) | instskip(NEXT) | instid1(VALU_DEP_3)
	v_cmp_gt_u32_e32 vcc_lo, s0, v2
	v_cmp_gt_u32_e64 s0, s1, v3
	s_delay_alu instid0(VALU_DEP_1) | instskip(NEXT) | instid1(SALU_CYCLE_1)
	s_and_b32 s0, vcc_lo, s0
	s_and_saveexec_b32 s1, s0
	s_cbranch_execz .LBB32_13
; %bb.8:
	s_clause 0x1
	s_load_b128 s[8:11], s[22:23], 0x0
	s_load_b64 s[0:1], s[22:23], 0x10
	v_dual_mov_b32 v5, 0 :: v_dual_mov_b32 v4, 0
	s_mul_i32 s21, s21, s5
	s_waitcnt lgkmcnt(0)
	s_cmp_eq_u64 s[10:11], 0
	s_cbranch_scc1 .LBB32_10
; %bb.9:
	s_bitcmp1_b32 s6, 0
	v_mov_b32_e32 v7, 0
	s_cselect_b32 vcc_lo, -1, 0
	v_cndmask_b32_e32 v4, v3, v2, vcc_lo
	v_cndmask_b32_e32 v6, v2, v3, vcc_lo
	s_delay_alu instid0(VALU_DEP_2) | instskip(NEXT) | instid1(VALU_DEP_1)
	v_mul_lo_u32 v4, v4, s2
	v_add3_u32 v6, v6, s21, v4
	s_delay_alu instid0(VALU_DEP_1) | instskip(NEXT) | instid1(VALU_DEP_1)
	v_lshlrev_b64 v[6:7], 1, v[6:7]
	v_add_co_u32 v6, vcc_lo, s10, v6
	s_delay_alu instid0(VALU_DEP_2)
	v_add_co_ci_u32_e32 v7, vcc_lo, s11, v7, vcc_lo
	global_load_u16 v4, v[6:7], off
.LBB32_10:
	s_cmp_eq_u64 s[0:1], 0
	s_cbranch_scc1 .LBB32_12
; %bb.11:
	s_load_b32 s2, s[22:23], 0x50
	v_mov_b32_e32 v6, 0
	s_waitcnt lgkmcnt(0)
	s_bitcmp1_b32 s2, 8
	s_cselect_b32 vcc_lo, -1, 0
	v_cndmask_b32_e32 v5, v3, v2, vcc_lo
	v_cndmask_b32_e32 v7, v2, v3, vcc_lo
	s_delay_alu instid0(VALU_DEP_2) | instskip(NEXT) | instid1(VALU_DEP_1)
	v_mul_lo_u32 v5, v5, s3
	v_add3_u32 v5, v7, s21, v5
	s_delay_alu instid0(VALU_DEP_1) | instskip(NEXT) | instid1(VALU_DEP_1)
	v_lshlrev_b64 v[5:6], 1, v[5:6]
	v_add_co_u32 v5, vcc_lo, s0, v5
	s_delay_alu instid0(VALU_DEP_2)
	v_add_co_ci_u32_e32 v6, vcc_lo, s1, v6, vcc_lo
	global_load_u16 v5, v[5:6], off
.LBB32_12:
	v_mul_lo_u32 v6, v3, s4
	v_mov_b32_e32 v3, 0
	s_waitcnt vmcnt(0)
	v_mul_f16_e32 v5, v1, v5
	s_delay_alu instid0(VALU_DEP_1) | instskip(NEXT) | instid1(VALU_DEP_4)
	v_fmac_f16_e32 v5, v0, v4
	v_add3_u32 v2, v2, s21, v6
	s_delay_alu instid0(VALU_DEP_1) | instskip(NEXT) | instid1(VALU_DEP_1)
	v_lshlrev_b64 v[1:2], 1, v[2:3]
	v_add_co_u32 v0, vcc_lo, s8, v1
	s_delay_alu instid0(VALU_DEP_2)
	v_add_co_ci_u32_e32 v1, vcc_lo, s9, v2, vcc_lo
	global_store_b16 v[0:1], v5, off
.LBB32_13:
	s_endpgm
	.section	.rodata,"a",@progbits
	.p2align	6, 0x0
	.amdhsa_kernel Transform_H_H_000_16_16_VW_1
		.amdhsa_group_segment_fixed_size 0
		.amdhsa_private_segment_fixed_size 64
		.amdhsa_kernarg_size 344
		.amdhsa_user_sgpr_count 14
		.amdhsa_user_sgpr_dispatch_ptr 0
		.amdhsa_user_sgpr_queue_ptr 0
		.amdhsa_user_sgpr_kernarg_segment_ptr 1
		.amdhsa_user_sgpr_dispatch_id 0
		.amdhsa_user_sgpr_private_segment_size 0
		.amdhsa_wavefront_size32 1
		.amdhsa_uses_dynamic_stack 0
		.amdhsa_enable_private_segment 1
		.amdhsa_system_sgpr_workgroup_id_x 1
		.amdhsa_system_sgpr_workgroup_id_y 0
		.amdhsa_system_sgpr_workgroup_id_z 1
		.amdhsa_system_sgpr_workgroup_info 0
		.amdhsa_system_vgpr_workitem_id 0
		.amdhsa_next_free_vgpr 42
		.amdhsa_next_free_sgpr 34
		.amdhsa_reserve_vcc 1
		.amdhsa_float_round_mode_32 0
		.amdhsa_float_round_mode_16_64 0
		.amdhsa_float_denorm_mode_32 3
		.amdhsa_float_denorm_mode_16_64 3
		.amdhsa_dx10_clamp 1
		.amdhsa_ieee_mode 1
		.amdhsa_fp16_overflow 0
		.amdhsa_workgroup_processor_mode 1
		.amdhsa_memory_ordered 1
		.amdhsa_forward_progress 0
		.amdhsa_shared_vgpr_count 0
		.amdhsa_exception_fp_ieee_invalid_op 0
		.amdhsa_exception_fp_denorm_src 0
		.amdhsa_exception_fp_ieee_div_zero 0
		.amdhsa_exception_fp_ieee_overflow 0
		.amdhsa_exception_fp_ieee_underflow 0
		.amdhsa_exception_fp_ieee_inexact 0
		.amdhsa_exception_int_div_zero 0
	.end_amdhsa_kernel
	.text
.Lfunc_end32:
	.size	Transform_H_H_000_16_16_VW_1, .Lfunc_end32-Transform_H_H_000_16_16_VW_1
                                        ; -- End function
	.section	.AMDGPU.csdata,"",@progbits
; Kernel info:
; codeLenInByte = 740
; NumSgprs: 36
; NumVgprs: 42
; ScratchSize: 64
; MemoryBound: 0
; FloatMode: 240
; IeeeMode: 1
; LDSByteSize: 0 bytes/workgroup (compile time only)
; SGPRBlocks: 4
; VGPRBlocks: 5
; NumSGPRsForWavesPerEU: 36
; NumVGPRsForWavesPerEU: 42
; Occupancy: 16
; WaveLimiterHint : 1
; COMPUTE_PGM_RSRC2:SCRATCH_EN: 1
; COMPUTE_PGM_RSRC2:USER_SGPR: 14
; COMPUTE_PGM_RSRC2:TRAP_HANDLER: 0
; COMPUTE_PGM_RSRC2:TGID_X_EN: 1
; COMPUTE_PGM_RSRC2:TGID_Y_EN: 0
; COMPUTE_PGM_RSRC2:TGID_Z_EN: 1
; COMPUTE_PGM_RSRC2:TIDIG_COMP_CNT: 0
	.text
	.protected	Transform_H_H_000_16_16_VW_4 ; -- Begin function Transform_H_H_000_16_16_VW_4
	.globl	Transform_H_H_000_16_16_VW_4
	.p2align	8
	.type	Transform_H_H_000_16_16_VW_4,@function
Transform_H_H_000_16_16_VW_4:           ; @Transform_H_H_000_16_16_VW_4
; %bb.0:
	s_mov_b64 s[22:23], s[0:1]
	s_load_b32 s0, s[0:1], 0x64
	v_mov_b32_e32 v41, v0
	s_mov_b32 s24, s15
	s_mov_b32 s21, s14
	;; [unrolled: 1-line block ×3, first 2 shown]
	s_waitcnt lgkmcnt(0)
	v_cmp_eq_u16_e64 s0, 0x100, s0
	s_delay_alu instid0(VALU_DEP_1)
	s_and_b32 vcc_lo, exec_lo, s0
	s_mov_b32 s0, -1
	s_cbranch_vccnz .LBB33_2
; %bb.1:
	s_add_u32 s8, s22, 0x58
	s_addc_u32 s9, s23, 0
	s_getpc_b64 s[0:1]
	s_add_u32 s0, s0, __PRETTY_FUNCTION__._ZN10amd_detail9transformIDF16_DF16_Lb0ELb0ELb0ELj16ELj16ELj4EEEvPT_PKS1_S4_T0_PKS5_S5_S7_jjjjjjbb@rel32@lo+4
	s_addc_u32 s1, s1, __PRETTY_FUNCTION__._ZN10amd_detail9transformIDF16_DF16_Lb0ELb0ELb0ELj16ELj16ELj4EEEvPT_PKS1_S4_T0_PKS5_S5_S7_jjjjjjbb@rel32@hi+12
	s_delay_alu instid0(SALU_CYCLE_1) | instskip(SKIP_3) | instid1(SALU_CYCLE_1)
	v_dual_mov_b32 v0, s0 :: v_dual_mov_b32 v1, s1
	s_getpc_b64 s[2:3]
	s_add_u32 s2, s2, __assert_fail@rel32@lo+4
	s_addc_u32 s3, s3, __assert_fail@rel32@hi+12
	s_swappc_b64 s[30:31], s[2:3]
	; divergent unreachable
	s_mov_b32 s0, 0
.LBB33_2:
	s_delay_alu instid0(SALU_CYCLE_1)
	s_and_not1_b32 vcc_lo, exec_lo, s0
	s_cbranch_vccnz .LBB33_54
; %bb.3:
	s_load_b256 s[4:11], s[22:23], 0x38
	s_waitcnt lgkmcnt(0)
	s_and_b32 s0, s4, 63
	s_lshr_b32 s1, s4, 6
	s_cmp_lg_u32 s0, 0
	s_cselect_b32 s0, -1, 0
	s_delay_alu instid0(SALU_CYCLE_1)
	s_cmp_lg_u32 s0, 0
	s_addc_u32 s2, s1, 0
	s_clause 0x1
	s_load_b32 s3, s[22:23], 0x18
	s_load_b64 s[0:1], s[22:23], 0x20
	v_cvt_f32_u32_e32 v0, s2
	s_sub_i32 s12, 0, s2
	s_delay_alu instid0(VALU_DEP_1) | instskip(SKIP_4) | instid1(VALU_DEP_2)
	v_rcp_iflag_f32_e32 v0, v0
	s_waitcnt_depctr 0xfff
	v_mul_f32_e32 v0, 0x4f7ffffe, v0
	s_waitcnt lgkmcnt(0)
	v_mov_b32_e32 v6, s3
	v_cvt_u32_f32_e32 v0, v0
	s_delay_alu instid0(VALU_DEP_1) | instskip(NEXT) | instid1(VALU_DEP_1)
	v_readfirstlane_b32 s11, v0
	s_mul_i32 s12, s12, s11
	s_delay_alu instid0(SALU_CYCLE_1) | instskip(NEXT) | instid1(SALU_CYCLE_1)
	s_mul_hi_u32 s12, s11, s12
	s_add_i32 s11, s11, s12
	s_cmp_eq_u64 s[0:1], 0
	s_mul_hi_u32 s3, s21, s11
	s_cbranch_scc1 .LBB33_5
; %bb.4:
	v_mov_b32_e32 v0, 0
	global_load_u16 v6, v0, s[0:1]
.LBB33_5:
	s_clause 0x1
	s_load_b32 s11, s[22:23], 0x28
	s_load_b64 s[0:1], s[22:23], 0x30
	s_waitcnt lgkmcnt(0)
	v_mov_b32_e32 v9, s11
	s_cmp_eq_u64 s[0:1], 0
	s_cbranch_scc1 .LBB33_7
; %bb.6:
	v_mov_b32_e32 v0, 0
	global_load_u16 v9, v0, s[0:1]
.LBB33_7:
	s_mul_i32 s0, s3, s2
	s_add_i32 s1, s3, 1
	s_sub_i32 s0, s21, s0
	v_lshrrev_b32_e32 v0, 4, v41
	s_sub_i32 s11, s0, s2
	s_cmp_ge_u32 s0, s2
	s_cselect_b32 s1, s1, s3
	s_cselect_b32 s0, s11, s0
	s_add_i32 s3, s1, 1
	s_cmp_ge_u32 s0, s2
	s_mov_b32 s0, exec_lo
	s_cselect_b32 s1, s3, s1
	s_delay_alu instid0(SALU_CYCLE_1) | instskip(NEXT) | instid1(VALU_DEP_1)
	v_lshl_add_u32 v0, s1, 4, v0
	v_cmpx_gt_u32_e64 s5, v0
	s_cbranch_execz .LBB33_54
; %bb.8:
	v_dual_mov_b32 v12, 0 :: v_dual_lshlrev_b32 v1, 2, v41
	s_mul_i32 s1, s1, s2
	s_clause 0x1
	s_load_b128 s[12:15], s[22:23], 0x0
	s_load_b64 s[2:3], s[22:23], 0x10
	v_and_b32_e32 v7, 60, v1
	s_sub_i32 s0, s21, s1
	s_bitcmp1_b32 s10, 0
	v_mov_b32_e32 v13, 0
	s_cselect_b32 vcc_lo, -1, 0
	v_lshl_or_b32 v10, s0, 6, v7
	s_mul_i32 s24, s24, s9
	s_delay_alu instid0(VALU_DEP_1) | instskip(NEXT) | instid1(VALU_DEP_1)
	v_add_nc_u32_e32 v11, 4, v10
	v_sub_nc_u32_e64 v8, v11, s4 clamp
	s_waitcnt lgkmcnt(0)
	s_cmp_lg_u64 s[14:15], 0
	s_cselect_b32 s5, -1, 0
	s_delay_alu instid0(VALU_DEP_1) | instskip(SKIP_1) | instid1(VALU_DEP_1)
	v_sub_nc_u32_e32 v1, v10, v8
	s_cmp_eq_u64 s[14:15], 0
	v_mad_u64_u32 v[2:3], null, v0, s6, v[1:2]
	s_cbranch_scc1 .LBB33_10
; %bb.9:
	v_mad_u64_u32 v[3:4], null, v1, s6, v[0:1]
	s_delay_alu instid0(VALU_DEP_1) | instskip(NEXT) | instid1(VALU_DEP_1)
	v_dual_mov_b32 v4, 0 :: v_dual_cndmask_b32 v3, v2, v3
	v_add_nc_u32_e32 v3, s24, v3
	s_delay_alu instid0(VALU_DEP_1) | instskip(NEXT) | instid1(VALU_DEP_1)
	v_lshlrev_b64 v[3:4], 1, v[3:4]
	v_add_co_u32 v3, s0, s14, v3
	s_delay_alu instid0(VALU_DEP_1)
	v_add_co_ci_u32_e64 v4, s0, s15, v4, s0
	global_load_u16 v12, v[3:4], off
.LBB33_10:
	s_load_b32 s0, s[22:23], 0x50
	s_delay_alu instid0(VALU_DEP_1)
	v_mad_u64_u32 v[3:4], null, v0, s7, v[1:2]
	v_mul_lo_u32 v14, v1, s7
	s_xor_b32 s10, vcc_lo, -1
	s_waitcnt lgkmcnt(0)
	s_bitcmp1_b32 s0, 8
	s_cselect_b32 s0, -1, 0
	s_cmp_lg_u64 s[2:3], 0
	s_cselect_b32 s9, -1, 0
	s_cmp_eq_u64 s[2:3], 0
	s_cbranch_scc1 .LBB33_12
; %bb.11:
	v_dual_mov_b32 v5, 0 :: v_dual_add_nc_u32 v4, v14, v0
	s_delay_alu instid0(VALU_DEP_1) | instskip(NEXT) | instid1(VALU_DEP_1)
	v_cndmask_b32_e64 v4, v3, v4, s0
	v_add_nc_u32_e32 v4, s24, v4
	s_delay_alu instid0(VALU_DEP_1) | instskip(NEXT) | instid1(VALU_DEP_1)
	v_lshlrev_b64 v[4:5], 1, v[4:5]
	v_add_co_u32 v4, vcc_lo, s2, v4
	s_delay_alu instid0(VALU_DEP_2)
	v_add_co_ci_u32_e32 v5, vcc_lo, s3, v5, vcc_lo
	global_load_u16 v13, v[4:5], off
.LBB33_12:
	v_cndmask_b32_e64 v17, 0, 1, s10
	s_and_not1_b32 vcc_lo, exec_lo, s10
	s_cbranch_vccnz .LBB33_14
; %bb.13:
	v_add_nc_u32_e32 v4, 1, v2
	s_xor_b32 s0, s0, -1
	s_cbranch_execz .LBB33_15
	s_branch .LBB33_16
.LBB33_14:
                                        ; implicit-def: $vgpr4
	s_xor_b32 s0, s0, -1
.LBB33_15:
	v_mul_lo_u32 v4, s6, v1
	s_delay_alu instid0(VALU_DEP_1)
	v_add3_u32 v4, v4, s6, v0
.LBB33_16:
	v_cndmask_b32_e64 v18, 0, 1, s0
	s_and_not1_b32 vcc_lo, exec_lo, s0
	s_cbranch_vccnz .LBB33_18
; %bb.17:
	v_add_nc_u32_e32 v5, 1, v3
	s_cbranch_execz .LBB33_19
	s_branch .LBB33_20
.LBB33_18:
                                        ; implicit-def: $vgpr5
.LBB33_19:
	v_add3_u32 v5, v14, s7, v0
.LBB33_20:
	v_cndmask_b32_e64 v19, 0, 1, s5
	v_dual_mov_b32 v16, 0 :: v_dual_mov_b32 v15, 0
	s_and_not1_b32 vcc_lo, exec_lo, s5
	s_cbranch_vccnz .LBB33_22
; %bb.21:
	v_dual_mov_b32 v21, 0 :: v_dual_add_nc_u32 v20, s24, v4
	s_delay_alu instid0(VALU_DEP_1) | instskip(NEXT) | instid1(VALU_DEP_1)
	v_lshlrev_b64 v[20:21], 1, v[20:21]
	v_add_co_u32 v20, vcc_lo, s14, v20
	s_delay_alu instid0(VALU_DEP_2)
	v_add_co_ci_u32_e32 v21, vcc_lo, s15, v21, vcc_lo
	global_load_u16 v15, v[20:21], off
.LBB33_22:
	v_cndmask_b32_e64 v20, 0, 1, s9
	s_and_not1_b32 vcc_lo, exec_lo, s9
	s_cbranch_vccnz .LBB33_24
; %bb.23:
	v_dual_mov_b32 v5, 0 :: v_dual_add_nc_u32 v4, s24, v5
	s_delay_alu instid0(VALU_DEP_1) | instskip(NEXT) | instid1(VALU_DEP_1)
	v_lshlrev_b64 v[4:5], 1, v[4:5]
	v_add_co_u32 v4, vcc_lo, s2, v4
	s_delay_alu instid0(VALU_DEP_2)
	v_add_co_ci_u32_e32 v5, vcc_lo, s3, v5, vcc_lo
	global_load_u16 v16, v[4:5], off
.LBB33_24:
	v_cmp_ne_u32_e32 vcc_lo, 1, v17
	s_cbranch_vccnz .LBB33_26
; %bb.25:
	v_add_nc_u32_e32 v4, 2, v2
	s_cbranch_execz .LBB33_27
	s_branch .LBB33_28
.LBB33_26:
                                        ; implicit-def: $vgpr4
.LBB33_27:
	v_add_nc_u32_e32 v21, 2, v1
	s_delay_alu instid0(VALU_DEP_1)
	v_mad_u64_u32 v[4:5], null, v21, s6, v[0:1]
.LBB33_28:
	v_cmp_ne_u32_e32 vcc_lo, 1, v18
	s_cbranch_vccnz .LBB33_30
; %bb.29:
	v_add_nc_u32_e32 v5, 2, v3
	s_cbranch_execz .LBB33_31
	s_branch .LBB33_32
.LBB33_30:
                                        ; implicit-def: $vgpr5
.LBB33_31:
	s_lshl_b32 s0, s7, 1
	s_delay_alu instid0(SALU_CYCLE_1)
	v_add3_u32 v5, v14, s0, v0
.LBB33_32:
	v_cmp_ne_u32_e32 vcc_lo, 1, v19
	v_dual_mov_b32 v22, 0 :: v_dual_mov_b32 v21, 0
	s_cbranch_vccnz .LBB33_34
; %bb.33:
	v_dual_mov_b32 v24, 0 :: v_dual_add_nc_u32 v23, s24, v4
	s_delay_alu instid0(VALU_DEP_1) | instskip(NEXT) | instid1(VALU_DEP_1)
	v_lshlrev_b64 v[23:24], 1, v[23:24]
	v_add_co_u32 v23, vcc_lo, s14, v23
	s_delay_alu instid0(VALU_DEP_2)
	v_add_co_ci_u32_e32 v24, vcc_lo, s15, v24, vcc_lo
	global_load_u16 v21, v[23:24], off
.LBB33_34:
	v_cmp_ne_u32_e32 vcc_lo, 1, v20
	s_cbranch_vccnz .LBB33_36
; %bb.35:
	v_dual_mov_b32 v5, 0 :: v_dual_add_nc_u32 v4, s24, v5
	s_delay_alu instid0(VALU_DEP_1) | instskip(NEXT) | instid1(VALU_DEP_1)
	v_lshlrev_b64 v[4:5], 1, v[4:5]
	v_add_co_u32 v4, vcc_lo, s2, v4
	s_delay_alu instid0(VALU_DEP_2)
	v_add_co_ci_u32_e32 v5, vcc_lo, s3, v5, vcc_lo
	global_load_u16 v22, v[4:5], off
.LBB33_36:
	v_cmp_ne_u32_e32 vcc_lo, 1, v17
	s_cbranch_vccnz .LBB33_38
; %bb.37:
	v_add_nc_u32_e32 v4, 3, v2
	s_cbranch_execz .LBB33_39
	s_branch .LBB33_40
.LBB33_38:
                                        ; implicit-def: $vgpr4
.LBB33_39:
	v_add_nc_u32_e32 v1, 3, v1
	s_delay_alu instid0(VALU_DEP_1)
	v_mad_u64_u32 v[4:5], null, v1, s6, v[0:1]
.LBB33_40:
	v_cmp_ne_u32_e32 vcc_lo, 1, v18
	s_cbranch_vccnz .LBB33_42
; %bb.41:
	v_add_nc_u32_e32 v1, 3, v3
	s_cbranch_execz .LBB33_43
	s_branch .LBB33_44
.LBB33_42:
                                        ; implicit-def: $vgpr1
.LBB33_43:
	s_mul_i32 s0, s7, 3
	s_delay_alu instid0(SALU_CYCLE_1)
	v_add3_u32 v1, v14, s0, v0
.LBB33_44:
	v_cmp_ne_u32_e32 vcc_lo, 1, v19
	v_dual_mov_b32 v3, 0 :: v_dual_mov_b32 v14, 0
	s_cbranch_vccnz .LBB33_46
; %bb.45:
	v_dual_mov_b32 v5, 0 :: v_dual_add_nc_u32 v4, s24, v4
	s_delay_alu instid0(VALU_DEP_1) | instskip(NEXT) | instid1(VALU_DEP_1)
	v_lshlrev_b64 v[4:5], 1, v[4:5]
	v_add_co_u32 v4, vcc_lo, s14, v4
	s_delay_alu instid0(VALU_DEP_2)
	v_add_co_ci_u32_e32 v5, vcc_lo, s15, v5, vcc_lo
	global_load_u16 v14, v[4:5], off
.LBB33_46:
	v_cmp_ne_u32_e32 vcc_lo, 1, v20
	s_cbranch_vccnz .LBB33_48
; %bb.47:
	v_dual_mov_b32 v2, 0 :: v_dual_add_nc_u32 v1, s24, v1
	s_delay_alu instid0(VALU_DEP_1) | instskip(NEXT) | instid1(VALU_DEP_1)
	v_lshlrev_b64 v[1:2], 1, v[1:2]
	v_add_co_u32 v1, vcc_lo, s2, v1
	s_delay_alu instid0(VALU_DEP_2)
	v_add_co_ci_u32_e32 v2, vcc_lo, s3, v2, vcc_lo
	global_load_u16 v3, v[1:2], off
.LBB33_48:
	s_waitcnt vmcnt(0)
	v_mul_f16_e32 v2, v9, v13
	v_mul_f16_e32 v4, v9, v16
	;; [unrolled: 1-line block ×4, first 2 shown]
	v_mul_lo_u32 v0, v0, s8
	v_fmac_f16_e32 v2, v6, v12
	v_fmac_f16_e32 v4, v6, v15
	;; [unrolled: 1-line block ×4, first 2 shown]
	s_mov_b32 s0, exec_lo
	v_cmpx_ge_u32_e64 s4, v11
	s_xor_b32 s0, exec_lo, s0
	s_cbranch_execz .LBB33_50
; %bb.49:
	v_add_nc_u32_e32 v1, s24, v10
	s_delay_alu instid0(VALU_DEP_1) | instskip(NEXT) | instid1(VALU_DEP_1)
	v_sub_nc_u32_e32 v6, v1, v8
	v_dual_mov_b32 v1, 0 :: v_dual_add_nc_u32 v0, v6, v0
	s_delay_alu instid0(VALU_DEP_1) | instskip(NEXT) | instid1(VALU_DEP_2)
	v_mov_b32_e32 v7, v1
	v_dual_mov_b32 v9, v1 :: v_dual_add_nc_u32 v8, 2, v0
	v_add_nc_u32_e32 v6, 1, v0
	v_lshlrev_b64 v[10:11], 1, v[0:1]
	v_add_nc_u32_e32 v0, 3, v0
	s_delay_alu instid0(VALU_DEP_4) | instskip(NEXT) | instid1(VALU_DEP_4)
	v_lshlrev_b64 v[8:9], 1, v[8:9]
	v_lshlrev_b64 v[6:7], 1, v[6:7]
	s_delay_alu instid0(VALU_DEP_4) | instskip(SKIP_2) | instid1(VALU_DEP_4)
	v_add_co_u32 v10, vcc_lo, s12, v10
	v_add_co_ci_u32_e32 v11, vcc_lo, s13, v11, vcc_lo
	v_lshlrev_b64 v[0:1], 1, v[0:1]
	v_add_co_u32 v6, vcc_lo, s12, v6
	v_add_co_ci_u32_e32 v7, vcc_lo, s13, v7, vcc_lo
	v_add_co_u32 v8, vcc_lo, s12, v8
	v_add_co_ci_u32_e32 v9, vcc_lo, s13, v9, vcc_lo
	v_add_co_u32 v0, vcc_lo, s12, v0
	v_add_co_ci_u32_e32 v1, vcc_lo, s13, v1, vcc_lo
	s_clause 0x3
	global_store_b16 v[10:11], v2, off
	global_store_b16 v[6:7], v4, off
	;; [unrolled: 1-line block ×4, first 2 shown]
                                        ; implicit-def: $vgpr8
                                        ; implicit-def: $vgpr3
                                        ; implicit-def: $vgpr5
                                        ; implicit-def: $vgpr4
                                        ; implicit-def: $vgpr2
                                        ; implicit-def: $vgpr7
                                        ; implicit-def: $vgpr0
.LBB33_50:
	s_and_not1_saveexec_b32 s0, s0
	s_cbranch_execz .LBB33_54
; %bb.51:
	v_cmp_gt_u32_e32 vcc_lo, 4, v8
	s_and_b32 exec_lo, exec_lo, vcc_lo
	s_cbranch_execz .LBB33_54
; %bb.52:
	v_lshl_or_b32 v1, s21, 6, v7
	s_lshl_b32 s0, s1, 6
	v_perm_b32 v3, v3, v5, 0x5040100
	v_perm_b32 v2, v4, v2, 0x5040100
	s_mov_b32 s2, 0
	v_subrev_nc_u32_e32 v6, s0, v1
	v_add3_u32 v9, s24, v0, v1
	v_mov_b32_e32 v1, 0
	s_delay_alu instid0(VALU_DEP_3) | instskip(NEXT) | instid1(VALU_DEP_1)
	v_add_nc_u32_e32 v7, 4, v6
	v_min_u32_e32 v8, s4, v7
	s_delay_alu instid0(VALU_DEP_1) | instskip(SKIP_2) | instid1(VALU_DEP_3)
	v_sub_nc_u32_e32 v6, v6, v8
	v_sub_nc_u32_e32 v0, v7, v8
	v_subrev_nc_u32_e32 v7, s0, v9
	v_dual_mov_b32 v5, v1 :: v_dual_add_nc_u32 v6, 3, v6
	s_delay_alu instid0(VALU_DEP_3) | instskip(NEXT) | instid1(VALU_DEP_3)
	v_mov_b32_e32 v4, v0
	v_mov_b32_e32 v0, v7
	.p2align	6
.LBB33_53:                              ; =>This Inner Loop Header: Depth=1
	s_delay_alu instid0(VALU_DEP_1) | instskip(NEXT) | instid1(VALU_DEP_4)
	v_lshlrev_b64 v[7:8], 1, v[0:1]
	v_add_nc_u32_e32 v6, 1, v6
	s_delay_alu instid0(VALU_DEP_4) | instskip(SKIP_2) | instid1(VALU_DEP_4)
	v_lshlrev_b32_e32 v9, 4, v4
	v_add_co_u32 v4, vcc_lo, v4, 1
	v_add_nc_u32_e32 v0, 1, v0
	v_cmp_lt_u32_e64 s0, 2, v6
	v_add_co_u32 v7, s1, s12, v7
	v_lshrrev_b64 v[9:10], v9, v[2:3]
	v_add_co_ci_u32_e64 v8, s1, s13, v8, s1
	v_add_co_ci_u32_e32 v5, vcc_lo, 0, v5, vcc_lo
	s_or_b32 s2, s0, s2
	global_store_b16 v[7:8], v9, off
	s_and_not1_b32 exec_lo, exec_lo, s2
	s_cbranch_execnz .LBB33_53
.LBB33_54:
	s_endpgm
	.section	.rodata,"a",@progbits
	.p2align	6, 0x0
	.amdhsa_kernel Transform_H_H_000_16_16_VW_4
		.amdhsa_group_segment_fixed_size 0
		.amdhsa_private_segment_fixed_size 64
		.amdhsa_kernarg_size 344
		.amdhsa_user_sgpr_count 14
		.amdhsa_user_sgpr_dispatch_ptr 0
		.amdhsa_user_sgpr_queue_ptr 0
		.amdhsa_user_sgpr_kernarg_segment_ptr 1
		.amdhsa_user_sgpr_dispatch_id 0
		.amdhsa_user_sgpr_private_segment_size 0
		.amdhsa_wavefront_size32 1
		.amdhsa_uses_dynamic_stack 0
		.amdhsa_enable_private_segment 1
		.amdhsa_system_sgpr_workgroup_id_x 1
		.amdhsa_system_sgpr_workgroup_id_y 0
		.amdhsa_system_sgpr_workgroup_id_z 1
		.amdhsa_system_sgpr_workgroup_info 0
		.amdhsa_system_vgpr_workitem_id 0
		.amdhsa_next_free_vgpr 42
		.amdhsa_next_free_sgpr 34
		.amdhsa_reserve_vcc 1
		.amdhsa_float_round_mode_32 0
		.amdhsa_float_round_mode_16_64 0
		.amdhsa_float_denorm_mode_32 3
		.amdhsa_float_denorm_mode_16_64 3
		.amdhsa_dx10_clamp 1
		.amdhsa_ieee_mode 1
		.amdhsa_fp16_overflow 0
		.amdhsa_workgroup_processor_mode 1
		.amdhsa_memory_ordered 1
		.amdhsa_forward_progress 0
		.amdhsa_shared_vgpr_count 0
		.amdhsa_exception_fp_ieee_invalid_op 0
		.amdhsa_exception_fp_denorm_src 0
		.amdhsa_exception_fp_ieee_div_zero 0
		.amdhsa_exception_fp_ieee_overflow 0
		.amdhsa_exception_fp_ieee_underflow 0
		.amdhsa_exception_fp_ieee_inexact 0
		.amdhsa_exception_int_div_zero 0
	.end_amdhsa_kernel
	.text
.Lfunc_end33:
	.size	Transform_H_H_000_16_16_VW_4, .Lfunc_end33-Transform_H_H_000_16_16_VW_4
                                        ; -- End function
	.section	.AMDGPU.csdata,"",@progbits
; Kernel info:
; codeLenInByte = 1752
; NumSgprs: 36
; NumVgprs: 42
; ScratchSize: 64
; MemoryBound: 0
; FloatMode: 240
; IeeeMode: 1
; LDSByteSize: 0 bytes/workgroup (compile time only)
; SGPRBlocks: 4
; VGPRBlocks: 5
; NumSGPRsForWavesPerEU: 36
; NumVGPRsForWavesPerEU: 42
; Occupancy: 16
; WaveLimiterHint : 1
; COMPUTE_PGM_RSRC2:SCRATCH_EN: 1
; COMPUTE_PGM_RSRC2:USER_SGPR: 14
; COMPUTE_PGM_RSRC2:TRAP_HANDLER: 0
; COMPUTE_PGM_RSRC2:TGID_X_EN: 1
; COMPUTE_PGM_RSRC2:TGID_Y_EN: 0
; COMPUTE_PGM_RSRC2:TGID_Z_EN: 1
; COMPUTE_PGM_RSRC2:TIDIG_COMP_CNT: 0
	.text
	.protected	Transform_H_S_111_16_16_VW_1 ; -- Begin function Transform_H_S_111_16_16_VW_1
	.globl	Transform_H_S_111_16_16_VW_1
	.p2align	8
	.type	Transform_H_S_111_16_16_VW_1,@function
Transform_H_S_111_16_16_VW_1:           ; @Transform_H_S_111_16_16_VW_1
; %bb.0:
	s_mov_b64 s[22:23], s[0:1]
	s_load_b32 s0, s[0:1], 0x64
	v_mov_b32_e32 v41, v0
	s_mov_b32 s21, s15
	s_mov_b32 s24, s14
	;; [unrolled: 1-line block ×3, first 2 shown]
	s_waitcnt lgkmcnt(0)
	v_cmp_eq_u16_e64 s0, 0x100, s0
	s_delay_alu instid0(VALU_DEP_1)
	s_and_b32 vcc_lo, exec_lo, s0
	s_mov_b32 s0, -1
	s_cbranch_vccnz .LBB34_2
; %bb.1:
	s_add_u32 s8, s22, 0x58
	s_addc_u32 s9, s23, 0
	s_getpc_b64 s[0:1]
	s_add_u32 s0, s0, __PRETTY_FUNCTION__._ZN10amd_detail9transformIDF16_fLb1ELb1ELb1ELj16ELj16ELj1EEEvPT_PKS1_S4_T0_PKS5_S5_S7_jjjjjjbb@rel32@lo+4
	s_addc_u32 s1, s1, __PRETTY_FUNCTION__._ZN10amd_detail9transformIDF16_fLb1ELb1ELb1ELj16ELj16ELj1EEEvPT_PKS1_S4_T0_PKS5_S5_S7_jjjjjjbb@rel32@hi+12
	s_delay_alu instid0(SALU_CYCLE_1) | instskip(SKIP_3) | instid1(SALU_CYCLE_1)
	v_dual_mov_b32 v0, s0 :: v_dual_mov_b32 v1, s1
	s_getpc_b64 s[2:3]
	s_add_u32 s2, s2, __assert_fail@rel32@lo+4
	s_addc_u32 s3, s3, __assert_fail@rel32@hi+12
	s_swappc_b64 s[30:31], s[2:3]
	; divergent unreachable
	s_mov_b32 s0, 0
.LBB34_2:
	s_delay_alu instid0(SALU_CYCLE_1)
	s_and_not1_b32 vcc_lo, exec_lo, s0
	s_cbranch_vccnz .LBB34_14
; %bb.3:
	s_load_b256 s[0:7], s[22:23], 0x38
	s_waitcnt lgkmcnt(0)
	s_and_b32 s7, s0, 15
	s_lshr_b32 s8, s0, 4
	s_cmp_lg_u32 s7, 0
	s_cselect_b32 s7, -1, 0
	s_delay_alu instid0(SALU_CYCLE_1) | instskip(SKIP_4) | instid1(VALU_DEP_1)
	s_cmp_lg_u32 s7, 0
	s_addc_u32 s10, s8, 0
	s_load_b64 s[8:9], s[22:23], 0x20
	v_cvt_f32_u32_e32 v0, s10
	s_sub_i32 s11, 0, s10
	v_rcp_iflag_f32_e32 v0, v0
	s_waitcnt_depctr 0xfff
	v_mul_f32_e32 v0, 0x4f7ffffe, v0
	s_delay_alu instid0(VALU_DEP_1) | instskip(NEXT) | instid1(VALU_DEP_1)
	v_cvt_u32_f32_e32 v0, v0
	v_readfirstlane_b32 s7, v0
	s_delay_alu instid0(VALU_DEP_1) | instskip(NEXT) | instid1(SALU_CYCLE_1)
	s_mul_i32 s11, s11, s7
	s_mul_hi_u32 s11, s7, s11
	s_delay_alu instid0(SALU_CYCLE_1)
	s_add_i32 s7, s7, s11
	s_waitcnt lgkmcnt(0)
	s_cmp_eq_u64 s[8:9], 0
	s_mul_hi_u32 s11, s24, s7
	s_cbranch_scc1 .LBB34_6
; %bb.4:
	s_load_b32 s7, s[8:9], 0x0
	s_load_b64 s[8:9], s[22:23], 0x30
	s_waitcnt lgkmcnt(0)
	s_cmp_eq_u64 s[8:9], 0
	s_cbranch_scc1 .LBB34_7
.LBB34_5:
	s_load_b32 s12, s[8:9], 0x0
	s_branch .LBB34_8
.LBB34_6:
	s_clause 0x1
	s_load_b32 s7, s[22:23], 0x18
	s_load_b64 s[8:9], s[22:23], 0x30
	s_waitcnt lgkmcnt(0)
	s_cmp_eq_u64 s[8:9], 0
	s_cbranch_scc0 .LBB34_5
.LBB34_7:
	s_load_b32 s12, s[22:23], 0x28
.LBB34_8:
	s_mul_i32 s8, s11, s10
	s_add_i32 s9, s11, 1
	s_sub_i32 s8, s24, s8
	v_and_b32_e32 v0, 15, v41
	s_sub_i32 s13, s8, s10
	s_cmp_ge_u32 s8, s10
	v_lshrrev_b32_e32 v2, 4, v41
	s_cselect_b32 s9, s9, s11
	s_cselect_b32 s8, s13, s8
	s_add_i32 s11, s9, 1
	s_cmp_ge_u32 s8, s10
	s_cselect_b32 s8, s11, s9
	s_delay_alu instid0(SALU_CYCLE_1) | instskip(NEXT) | instid1(SALU_CYCLE_1)
	s_mul_i32 s9, s8, s10
	s_sub_i32 s9, s24, s9
	s_delay_alu instid0(SALU_CYCLE_1) | instskip(SKIP_1) | instid1(VALU_DEP_2)
	v_lshl_or_b32 v1, s9, 4, v0
	v_lshl_add_u32 v0, s8, 4, v2
	v_cmp_gt_u32_e32 vcc_lo, s0, v1
	s_delay_alu instid0(VALU_DEP_2) | instskip(NEXT) | instid1(VALU_DEP_1)
	v_cmp_gt_u32_e64 s0, s1, v0
	s_and_b32 s0, vcc_lo, s0
	s_delay_alu instid0(SALU_CYCLE_1)
	s_and_saveexec_b32 s1, s0
	s_cbranch_execz .LBB34_14
; %bb.9:
	s_clause 0x1
	s_load_b128 s[8:11], s[22:23], 0x0
	s_load_b64 s[0:1], s[22:23], 0x10
	v_dual_mov_b32 v3, 0 :: v_dual_mov_b32 v2, 0
	s_mul_i32 s21, s21, s5
	s_waitcnt lgkmcnt(0)
	s_cmp_eq_u64 s[10:11], 0
	s_cbranch_scc1 .LBB34_11
; %bb.10:
	s_bitcmp1_b32 s6, 0
	v_mov_b32_e32 v5, 0
	s_cselect_b32 vcc_lo, -1, 0
	v_cndmask_b32_e32 v2, v1, v0, vcc_lo
	v_cndmask_b32_e32 v4, v0, v1, vcc_lo
	s_delay_alu instid0(VALU_DEP_2) | instskip(NEXT) | instid1(VALU_DEP_1)
	v_mul_lo_u32 v2, v2, s2
	v_add3_u32 v4, v4, s21, v2
	s_delay_alu instid0(VALU_DEP_1) | instskip(NEXT) | instid1(VALU_DEP_1)
	v_lshlrev_b64 v[4:5], 1, v[4:5]
	v_add_co_u32 v4, vcc_lo, s10, v4
	s_delay_alu instid0(VALU_DEP_2)
	v_add_co_ci_u32_e32 v5, vcc_lo, s11, v5, vcc_lo
	global_load_u16 v2, v[4:5], off
	s_waitcnt vmcnt(0)
	v_cvt_f32_f16_e32 v2, v2
.LBB34_11:
	s_cmp_eq_u64 s[0:1], 0
	s_cbranch_scc1 .LBB34_13
; %bb.12:
	s_load_b32 s2, s[22:23], 0x50
	v_mov_b32_e32 v4, 0
	s_waitcnt lgkmcnt(0)
	s_bitcmp1_b32 s2, 8
	s_cselect_b32 vcc_lo, -1, 0
	v_cndmask_b32_e32 v3, v1, v0, vcc_lo
	v_cndmask_b32_e32 v5, v0, v1, vcc_lo
	s_delay_alu instid0(VALU_DEP_2) | instskip(NEXT) | instid1(VALU_DEP_1)
	v_mul_lo_u32 v3, v3, s3
	v_add3_u32 v3, v5, s21, v3
	s_delay_alu instid0(VALU_DEP_1) | instskip(NEXT) | instid1(VALU_DEP_1)
	v_lshlrev_b64 v[3:4], 1, v[3:4]
	v_add_co_u32 v3, vcc_lo, s0, v3
	s_delay_alu instid0(VALU_DEP_2)
	v_add_co_ci_u32_e32 v4, vcc_lo, s1, v4, vcc_lo
	global_load_u16 v3, v[3:4], off
	s_waitcnt vmcnt(0)
	v_cvt_f32_f16_e32 v3, v3
.LBB34_13:
	v_mul_lo_u32 v4, v1, s4
	v_mov_b32_e32 v1, 0
	s_delay_alu instid0(VALU_DEP_3) | instskip(NEXT) | instid1(VALU_DEP_1)
	v_mul_f32_e32 v3, s12, v3
	v_fma_mixlo_f16 v2, s7, v2, v3
	s_delay_alu instid0(VALU_DEP_4) | instskip(NEXT) | instid1(VALU_DEP_1)
	v_add3_u32 v0, v0, s21, v4
	v_lshlrev_b64 v[0:1], 1, v[0:1]
	s_delay_alu instid0(VALU_DEP_1) | instskip(NEXT) | instid1(VALU_DEP_2)
	v_add_co_u32 v0, vcc_lo, s8, v0
	v_add_co_ci_u32_e32 v1, vcc_lo, s9, v1, vcc_lo
	global_store_b16 v[0:1], v2, off
.LBB34_14:
	s_endpgm
	.section	.rodata,"a",@progbits
	.p2align	6, 0x0
	.amdhsa_kernel Transform_H_S_111_16_16_VW_1
		.amdhsa_group_segment_fixed_size 0
		.amdhsa_private_segment_fixed_size 64
		.amdhsa_kernarg_size 344
		.amdhsa_user_sgpr_count 14
		.amdhsa_user_sgpr_dispatch_ptr 0
		.amdhsa_user_sgpr_queue_ptr 0
		.amdhsa_user_sgpr_kernarg_segment_ptr 1
		.amdhsa_user_sgpr_dispatch_id 0
		.amdhsa_user_sgpr_private_segment_size 0
		.amdhsa_wavefront_size32 1
		.amdhsa_uses_dynamic_stack 0
		.amdhsa_enable_private_segment 1
		.amdhsa_system_sgpr_workgroup_id_x 1
		.amdhsa_system_sgpr_workgroup_id_y 0
		.amdhsa_system_sgpr_workgroup_id_z 1
		.amdhsa_system_sgpr_workgroup_info 0
		.amdhsa_system_vgpr_workitem_id 0
		.amdhsa_next_free_vgpr 42
		.amdhsa_next_free_sgpr 34
		.amdhsa_reserve_vcc 1
		.amdhsa_float_round_mode_32 0
		.amdhsa_float_round_mode_16_64 0
		.amdhsa_float_denorm_mode_32 3
		.amdhsa_float_denorm_mode_16_64 3
		.amdhsa_dx10_clamp 1
		.amdhsa_ieee_mode 1
		.amdhsa_fp16_overflow 0
		.amdhsa_workgroup_processor_mode 1
		.amdhsa_memory_ordered 1
		.amdhsa_forward_progress 0
		.amdhsa_shared_vgpr_count 0
		.amdhsa_exception_fp_ieee_invalid_op 0
		.amdhsa_exception_fp_denorm_src 0
		.amdhsa_exception_fp_ieee_div_zero 0
		.amdhsa_exception_fp_ieee_overflow 0
		.amdhsa_exception_fp_ieee_underflow 0
		.amdhsa_exception_fp_ieee_inexact 0
		.amdhsa_exception_int_div_zero 0
	.end_amdhsa_kernel
	.text
.Lfunc_end34:
	.size	Transform_H_S_111_16_16_VW_1, .Lfunc_end34-Transform_H_S_111_16_16_VW_1
                                        ; -- End function
	.section	.AMDGPU.csdata,"",@progbits
; Kernel info:
; codeLenInByte = 764
; NumSgprs: 36
; NumVgprs: 42
; ScratchSize: 64
; MemoryBound: 0
; FloatMode: 240
; IeeeMode: 1
; LDSByteSize: 0 bytes/workgroup (compile time only)
; SGPRBlocks: 4
; VGPRBlocks: 5
; NumSGPRsForWavesPerEU: 36
; NumVGPRsForWavesPerEU: 42
; Occupancy: 16
; WaveLimiterHint : 1
; COMPUTE_PGM_RSRC2:SCRATCH_EN: 1
; COMPUTE_PGM_RSRC2:USER_SGPR: 14
; COMPUTE_PGM_RSRC2:TRAP_HANDLER: 0
; COMPUTE_PGM_RSRC2:TGID_X_EN: 1
; COMPUTE_PGM_RSRC2:TGID_Y_EN: 0
; COMPUTE_PGM_RSRC2:TGID_Z_EN: 1
; COMPUTE_PGM_RSRC2:TIDIG_COMP_CNT: 0
	.text
	.protected	Transform_H_S_111_16_16_VW_4 ; -- Begin function Transform_H_S_111_16_16_VW_4
	.globl	Transform_H_S_111_16_16_VW_4
	.p2align	8
	.type	Transform_H_S_111_16_16_VW_4,@function
Transform_H_S_111_16_16_VW_4:           ; @Transform_H_S_111_16_16_VW_4
; %bb.0:
	s_mov_b64 s[22:23], s[0:1]
	s_load_b32 s0, s[0:1], 0x64
	v_mov_b32_e32 v41, v0
	s_mov_b32 s24, s15
	s_mov_b32 s21, s14
	;; [unrolled: 1-line block ×3, first 2 shown]
	s_waitcnt lgkmcnt(0)
	v_cmp_eq_u16_e64 s0, 0x100, s0
	s_delay_alu instid0(VALU_DEP_1)
	s_and_b32 vcc_lo, exec_lo, s0
	s_mov_b32 s0, -1
	s_cbranch_vccnz .LBB35_2
; %bb.1:
	s_add_u32 s8, s22, 0x58
	s_addc_u32 s9, s23, 0
	s_getpc_b64 s[0:1]
	s_add_u32 s0, s0, __PRETTY_FUNCTION__._ZN10amd_detail9transformIDF16_fLb1ELb1ELb1ELj16ELj16ELj4EEEvPT_PKS1_S4_T0_PKS5_S5_S7_jjjjjjbb@rel32@lo+4
	s_addc_u32 s1, s1, __PRETTY_FUNCTION__._ZN10amd_detail9transformIDF16_fLb1ELb1ELb1ELj16ELj16ELj4EEEvPT_PKS1_S4_T0_PKS5_S5_S7_jjjjjjbb@rel32@hi+12
	s_delay_alu instid0(SALU_CYCLE_1) | instskip(SKIP_3) | instid1(SALU_CYCLE_1)
	v_dual_mov_b32 v0, s0 :: v_dual_mov_b32 v1, s1
	s_getpc_b64 s[2:3]
	s_add_u32 s2, s2, __assert_fail@rel32@lo+4
	s_addc_u32 s3, s3, __assert_fail@rel32@hi+12
	s_swappc_b64 s[30:31], s[2:3]
	; divergent unreachable
	s_mov_b32 s0, 0
.LBB35_2:
	s_delay_alu instid0(SALU_CYCLE_1)
	s_and_not1_b32 vcc_lo, exec_lo, s0
	s_cbranch_vccnz .LBB35_55
; %bb.3:
	s_load_b128 s[0:3], s[22:23], 0x38
	s_waitcnt lgkmcnt(0)
	s_and_b32 s4, s0, 15
	s_lshr_b32 s5, s0, 4
	s_cmp_lg_u32 s4, 0
	s_cselect_b32 s4, -1, 0
	s_delay_alu instid0(SALU_CYCLE_1) | instskip(SKIP_4) | instid1(VALU_DEP_1)
	s_cmp_lg_u32 s4, 0
	s_addc_u32 s6, s5, 0
	s_load_b64 s[4:5], s[22:23], 0x20
	v_cvt_f32_u32_e32 v0, s6
	s_sub_i32 s8, 0, s6
	v_rcp_iflag_f32_e32 v0, v0
	s_waitcnt_depctr 0xfff
	v_mul_f32_e32 v0, 0x4f7ffffe, v0
	s_delay_alu instid0(VALU_DEP_1) | instskip(NEXT) | instid1(VALU_DEP_1)
	v_cvt_u32_f32_e32 v0, v0
	v_readfirstlane_b32 s7, v0
	s_delay_alu instid0(VALU_DEP_1) | instskip(NEXT) | instid1(SALU_CYCLE_1)
	s_mul_i32 s8, s8, s7
	s_mul_hi_u32 s8, s7, s8
	s_delay_alu instid0(SALU_CYCLE_1)
	s_add_i32 s7, s7, s8
	s_waitcnt lgkmcnt(0)
	s_cmp_eq_u64 s[4:5], 0
	s_mul_hi_u32 s7, s21, s7
	s_cbranch_scc1 .LBB35_6
; %bb.4:
	s_load_b32 s15, s[4:5], 0x0
	s_load_b64 s[4:5], s[22:23], 0x30
	s_waitcnt lgkmcnt(0)
	s_cmp_eq_u64 s[4:5], 0
	s_cbranch_scc1 .LBB35_7
.LBB35_5:
	s_load_b32 s16, s[4:5], 0x0
	s_branch .LBB35_8
.LBB35_6:
	s_clause 0x1
	s_load_b32 s15, s[22:23], 0x18
	s_load_b64 s[4:5], s[22:23], 0x30
	s_waitcnt lgkmcnt(0)
	s_cmp_eq_u64 s[4:5], 0
	s_cbranch_scc0 .LBB35_5
.LBB35_7:
	s_load_b32 s16, s[22:23], 0x28
.LBB35_8:
	s_mul_i32 s4, s7, s6
	s_add_i32 s5, s7, 1
	s_sub_i32 s4, s21, s4
	v_and_b32_e32 v5, 15, v41
	s_sub_i32 s8, s4, s6
	s_cmp_ge_u32 s4, s6
	s_cselect_b32 s5, s5, s7
	s_cselect_b32 s4, s8, s4
	s_add_i32 s7, s5, 1
	s_cmp_ge_u32 s4, s6
	s_cselect_b32 s12, s7, s5
	s_delay_alu instid0(SALU_CYCLE_1) | instskip(NEXT) | instid1(SALU_CYCLE_1)
	s_mul_i32 s14, s12, s6
	s_sub_i32 s4, s21, s14
	s_delay_alu instid0(SALU_CYCLE_1) | instskip(NEXT) | instid1(VALU_DEP_1)
	v_lshl_or_b32 v2, s4, 4, v5
	v_cmp_gt_u32_e32 vcc_lo, s0, v2
	s_and_saveexec_b32 s0, vcc_lo
	s_cbranch_execz .LBB35_55
; %bb.9:
	v_lshrrev_b32_e32 v0, 2, v41
	s_clause 0x1
	s_load_b128 s[8:11], s[22:23], 0x48
	s_load_b128 s[4:7], s[22:23], 0x0
	s_waitcnt lgkmcnt(0)
	s_lshl_b32 s11, s12, 6
	s_load_b64 s[12:13], s[22:23], 0x10
	v_dual_mov_b32 v9, 0 :: v_dual_and_b32 v6, 0xfc, v0
	s_delay_alu instid0(VALU_DEP_1) | instskip(NEXT) | instid1(VALU_DEP_1)
	v_dual_mov_b32 v8, 0 :: v_dual_add_nc_u32 v1, s11, v6
	v_add_nc_u32_e32 v7, 4, v1
	v_mad_u64_u32 v[3:4], null, v2, s2, v[1:2]
	s_bitcmp1_b32 s10, 0
	s_delay_alu instid0(VALU_DEP_2) | instskip(SKIP_4) | instid1(VALU_DEP_2)
	v_sub_nc_u32_e64 v0, v7, s1 clamp
	s_cselect_b32 vcc_lo, -1, 0
	s_cmp_lg_u64 s[6:7], 0
	s_mul_i32 s24, s24, s9
	s_cselect_b32 s10, -1, 0
	v_sub_nc_u32_e32 v12, v3, v0
	v_sub_nc_u32_e32 v10, v1, v0
	s_cmp_eq_u64 s[6:7], 0
	s_cbranch_scc1 .LBB35_11
; %bb.10:
	s_delay_alu instid0(VALU_DEP_1) | instskip(NEXT) | instid1(VALU_DEP_1)
	v_mad_u64_u32 v[3:4], null, v10, s2, v[2:3]
	v_dual_mov_b32 v4, 0 :: v_dual_cndmask_b32 v3, v12, v3
	s_delay_alu instid0(VALU_DEP_1) | instskip(NEXT) | instid1(VALU_DEP_1)
	v_add_nc_u32_e32 v3, s24, v3
	v_lshlrev_b64 v[3:4], 1, v[3:4]
	s_delay_alu instid0(VALU_DEP_1) | instskip(NEXT) | instid1(VALU_DEP_1)
	v_add_co_u32 v3, s0, s6, v3
	v_add_co_ci_u32_e64 v4, s0, s7, v4, s0
	global_load_u16 v3, v[3:4], off
	s_waitcnt vmcnt(0)
	v_cvt_f32_f16_e32 v8, v3
.LBB35_11:
	s_load_b32 s0, s[22:23], 0x50
	v_mad_u64_u32 v[3:4], null, v2, s3, v[1:2]
	v_mul_lo_u32 v11, v10, s3
	s_xor_b32 s17, vcc_lo, -1
	s_delay_alu instid0(VALU_DEP_2)
	v_sub_nc_u32_e32 v13, v3, v0
	s_waitcnt lgkmcnt(0)
	s_bitcmp1_b32 s0, 8
	s_cselect_b32 s0, -1, 0
	s_cmp_lg_u64 s[12:13], 0
	s_cselect_b32 s9, -1, 0
	s_cmp_eq_u64 s[12:13], 0
	s_cbranch_scc1 .LBB35_13
; %bb.12:
	v_dual_mov_b32 v4, 0 :: v_dual_add_nc_u32 v3, v11, v2
	s_delay_alu instid0(VALU_DEP_1) | instskip(NEXT) | instid1(VALU_DEP_1)
	v_cndmask_b32_e64 v3, v13, v3, s0
	v_add_nc_u32_e32 v3, s24, v3
	s_delay_alu instid0(VALU_DEP_1) | instskip(NEXT) | instid1(VALU_DEP_1)
	v_lshlrev_b64 v[3:4], 1, v[3:4]
	v_add_co_u32 v3, vcc_lo, s12, v3
	s_delay_alu instid0(VALU_DEP_2)
	v_add_co_ci_u32_e32 v4, vcc_lo, s13, v4, vcc_lo
	global_load_u16 v3, v[3:4], off
	s_waitcnt vmcnt(0)
	v_cvt_f32_f16_e32 v9, v3
.LBB35_13:
	v_cndmask_b32_e64 v16, 0, 1, s17
	s_and_not1_b32 vcc_lo, exec_lo, s17
	s_cbranch_vccnz .LBB35_15
; %bb.14:
	v_add_nc_u32_e32 v3, 1, v12
	s_xor_b32 s0, s0, -1
	s_cbranch_execz .LBB35_16
	s_branch .LBB35_17
.LBB35_15:
                                        ; implicit-def: $vgpr3
	s_xor_b32 s0, s0, -1
.LBB35_16:
	v_mul_lo_u32 v3, s2, v10
	s_delay_alu instid0(VALU_DEP_1)
	v_add3_u32 v3, v3, s2, v2
.LBB35_17:
	v_cndmask_b32_e64 v17, 0, 1, s0
	s_and_not1_b32 vcc_lo, exec_lo, s0
	s_cbranch_vccnz .LBB35_19
; %bb.18:
	v_add_nc_u32_e32 v4, 1, v13
	s_cbranch_execz .LBB35_20
	s_branch .LBB35_21
.LBB35_19:
                                        ; implicit-def: $vgpr4
.LBB35_20:
	v_add3_u32 v4, v11, s3, v2
.LBB35_21:
	v_cndmask_b32_e64 v18, 0, 1, s10
	v_dual_mov_b32 v15, 0 :: v_dual_mov_b32 v14, 0
	s_and_not1_b32 vcc_lo, exec_lo, s10
	s_cbranch_vccnz .LBB35_23
; %bb.22:
	v_dual_mov_b32 v20, 0 :: v_dual_add_nc_u32 v19, s24, v3
	s_delay_alu instid0(VALU_DEP_1) | instskip(NEXT) | instid1(VALU_DEP_1)
	v_lshlrev_b64 v[19:20], 1, v[19:20]
	v_add_co_u32 v19, vcc_lo, s6, v19
	s_delay_alu instid0(VALU_DEP_2)
	v_add_co_ci_u32_e32 v20, vcc_lo, s7, v20, vcc_lo
	global_load_u16 v3, v[19:20], off
	s_waitcnt vmcnt(0)
	v_cvt_f32_f16_e32 v14, v3
.LBB35_23:
	v_cndmask_b32_e64 v19, 0, 1, s9
	s_and_not1_b32 vcc_lo, exec_lo, s9
	s_cbranch_vccnz .LBB35_25
; %bb.24:
	v_dual_mov_b32 v4, 0 :: v_dual_add_nc_u32 v3, s24, v4
	s_delay_alu instid0(VALU_DEP_1) | instskip(NEXT) | instid1(VALU_DEP_1)
	v_lshlrev_b64 v[3:4], 1, v[3:4]
	v_add_co_u32 v3, vcc_lo, s12, v3
	s_delay_alu instid0(VALU_DEP_2)
	v_add_co_ci_u32_e32 v4, vcc_lo, s13, v4, vcc_lo
	global_load_u16 v3, v[3:4], off
	s_waitcnt vmcnt(0)
	v_cvt_f32_f16_e32 v15, v3
.LBB35_25:
	v_cmp_ne_u32_e32 vcc_lo, 1, v16
	s_cbranch_vccnz .LBB35_27
; %bb.26:
	v_add_nc_u32_e32 v3, 2, v12
	s_cbranch_execz .LBB35_28
	s_branch .LBB35_29
.LBB35_27:
                                        ; implicit-def: $vgpr3
.LBB35_28:
	v_add_nc_u32_e32 v20, 2, v10
	s_delay_alu instid0(VALU_DEP_1)
	v_mad_u64_u32 v[3:4], null, v20, s2, v[2:3]
.LBB35_29:
	v_cmp_ne_u32_e32 vcc_lo, 1, v17
	s_cbranch_vccnz .LBB35_31
; %bb.30:
	v_add_nc_u32_e32 v4, 2, v13
	s_cbranch_execz .LBB35_32
	s_branch .LBB35_33
.LBB35_31:
                                        ; implicit-def: $vgpr4
.LBB35_32:
	s_lshl_b32 s0, s3, 1
	s_delay_alu instid0(SALU_CYCLE_1)
	v_add3_u32 v4, v11, s0, v2
.LBB35_33:
	v_cmp_ne_u32_e32 vcc_lo, 1, v18
	v_dual_mov_b32 v21, 0 :: v_dual_mov_b32 v20, 0
	s_cbranch_vccnz .LBB35_35
; %bb.34:
	v_dual_mov_b32 v23, 0 :: v_dual_add_nc_u32 v22, s24, v3
	s_delay_alu instid0(VALU_DEP_1) | instskip(NEXT) | instid1(VALU_DEP_1)
	v_lshlrev_b64 v[22:23], 1, v[22:23]
	v_add_co_u32 v22, vcc_lo, s6, v22
	s_delay_alu instid0(VALU_DEP_2)
	v_add_co_ci_u32_e32 v23, vcc_lo, s7, v23, vcc_lo
	global_load_u16 v3, v[22:23], off
	s_waitcnt vmcnt(0)
	v_cvt_f32_f16_e32 v20, v3
.LBB35_35:
	v_cmp_ne_u32_e32 vcc_lo, 1, v19
	s_cbranch_vccnz .LBB35_37
; %bb.36:
	v_dual_mov_b32 v4, 0 :: v_dual_add_nc_u32 v3, s24, v4
	s_delay_alu instid0(VALU_DEP_1) | instskip(NEXT) | instid1(VALU_DEP_1)
	v_lshlrev_b64 v[3:4], 1, v[3:4]
	v_add_co_u32 v3, vcc_lo, s12, v3
	s_delay_alu instid0(VALU_DEP_2)
	v_add_co_ci_u32_e32 v4, vcc_lo, s13, v4, vcc_lo
	global_load_u16 v3, v[3:4], off
	s_waitcnt vmcnt(0)
	v_cvt_f32_f16_e32 v21, v3
.LBB35_37:
	v_cmp_ne_u32_e32 vcc_lo, 1, v16
	s_cbranch_vccnz .LBB35_39
; %bb.38:
	v_add_nc_u32_e32 v3, 3, v12
	s_cbranch_execz .LBB35_40
	s_branch .LBB35_41
.LBB35_39:
                                        ; implicit-def: $vgpr3
.LBB35_40:
	v_add_nc_u32_e32 v10, 3, v10
	s_delay_alu instid0(VALU_DEP_1)
	v_mad_u64_u32 v[3:4], null, v10, s2, v[2:3]
.LBB35_41:
	v_cmp_ne_u32_e32 vcc_lo, 1, v17
	s_cbranch_vccnz .LBB35_43
; %bb.42:
	v_add_nc_u32_e32 v4, 3, v13
	s_cbranch_execz .LBB35_44
	s_branch .LBB35_45
.LBB35_43:
                                        ; implicit-def: $vgpr4
.LBB35_44:
	s_mul_i32 s0, s3, 3
	s_delay_alu instid0(SALU_CYCLE_1)
	v_add3_u32 v4, v11, s0, v2
.LBB35_45:
	v_cmp_ne_u32_e32 vcc_lo, 1, v18
	v_dual_mov_b32 v11, 0 :: v_dual_mov_b32 v10, 0
	s_cbranch_vccnz .LBB35_47
; %bb.46:
	v_dual_mov_b32 v13, 0 :: v_dual_add_nc_u32 v12, s24, v3
	s_delay_alu instid0(VALU_DEP_1) | instskip(NEXT) | instid1(VALU_DEP_1)
	v_lshlrev_b64 v[12:13], 1, v[12:13]
	v_add_co_u32 v12, vcc_lo, s6, v12
	s_delay_alu instid0(VALU_DEP_2)
	v_add_co_ci_u32_e32 v13, vcc_lo, s7, v13, vcc_lo
	global_load_u16 v3, v[12:13], off
	s_waitcnt vmcnt(0)
	v_cvt_f32_f16_e32 v10, v3
.LBB35_47:
	v_cmp_ne_u32_e32 vcc_lo, 1, v19
	s_cbranch_vccnz .LBB35_49
; %bb.48:
	v_dual_mov_b32 v4, 0 :: v_dual_add_nc_u32 v3, s24, v4
	s_delay_alu instid0(VALU_DEP_1) | instskip(NEXT) | instid1(VALU_DEP_1)
	v_lshlrev_b64 v[3:4], 1, v[3:4]
	v_add_co_u32 v3, vcc_lo, s12, v3
	s_delay_alu instid0(VALU_DEP_2)
	v_add_co_ci_u32_e32 v4, vcc_lo, s13, v4, vcc_lo
	global_load_u16 v3, v[3:4], off
	s_waitcnt vmcnt(0)
	v_cvt_f32_f16_e32 v11, v3
.LBB35_49:
	v_mul_f32_e32 v3, s16, v9
	v_dual_mul_f32 v9, s16, v15 :: v_dual_mul_f32 v12, s16, v21
	s_delay_alu instid0(VALU_DEP_3) | instskip(SKIP_1) | instid1(VALU_DEP_3)
	v_mul_f32_e32 v11, s16, v11
	s_mov_b32 s0, exec_lo
	v_fma_mixlo_f16 v4, s15, v8, v3
	s_delay_alu instid0(VALU_DEP_3)
	v_fma_mixlo_f16 v8, s15, v14, v9
	v_fma_mixlo_f16 v9, s15, v20, v12
	;; [unrolled: 1-line block ×3, first 2 shown]
	v_cmpx_ge_u32_e64 s1, v7
	s_xor_b32 s0, exec_lo, s0
	s_cbranch_execz .LBB35_51
; %bb.50:
	v_mul_lo_u32 v2, v2, s8
                                        ; implicit-def: $vgpr7
	s_delay_alu instid0(VALU_DEP_1) | instskip(NEXT) | instid1(VALU_DEP_1)
	v_add3_u32 v2, v1, s24, v2
	v_sub_nc_u32_e32 v0, v2, v0
	s_delay_alu instid0(VALU_DEP_1) | instskip(NEXT) | instid1(VALU_DEP_1)
	v_dual_mov_b32 v1, 0 :: v_dual_add_nc_u32 v10, 2, v0
	v_dual_mov_b32 v6, v1 :: v_dual_add_nc_u32 v5, 1, v0
	v_lshlrev_b64 v[12:13], 1, v[0:1]
	v_dual_mov_b32 v11, v1 :: v_dual_add_nc_u32 v0, 3, v0
	s_delay_alu instid0(VALU_DEP_3) | instskip(NEXT) | instid1(VALU_DEP_2)
	v_lshlrev_b64 v[5:6], 1, v[5:6]
	v_lshlrev_b64 v[10:11], 1, v[10:11]
	s_delay_alu instid0(VALU_DEP_4)
	v_add_co_u32 v12, vcc_lo, s4, v12
	v_add_co_ci_u32_e32 v13, vcc_lo, s5, v13, vcc_lo
	v_lshlrev_b64 v[0:1], 1, v[0:1]
	v_add_co_u32 v5, vcc_lo, s4, v5
	v_add_co_ci_u32_e32 v6, vcc_lo, s5, v6, vcc_lo
	v_add_co_u32 v10, vcc_lo, s4, v10
	v_add_co_ci_u32_e32 v11, vcc_lo, s5, v11, vcc_lo
	;; [unrolled: 2-line block ×3, first 2 shown]
	s_clause 0x3
	global_store_b16 v[12:13], v4, off
	global_store_b16 v[5:6], v8, off
	global_store_b16 v[10:11], v9, off
	global_store_b16 v[0:1], v3, off
                                        ; implicit-def: $vgpr5
                                        ; implicit-def: $vgpr6
                                        ; implicit-def: $vgpr1
                                        ; implicit-def: $vgpr0
                                        ; implicit-def: $vgpr4
                                        ; implicit-def: $vgpr8
                                        ; implicit-def: $vgpr9
                                        ; implicit-def: $vgpr3
.LBB35_51:
	s_and_not1_saveexec_b32 s0, s0
	s_cbranch_execz .LBB35_55
; %bb.52:
	v_cmp_gt_u32_e32 vcc_lo, 4, v0
	s_and_b32 exec_lo, exec_lo, vcc_lo
	s_cbranch_execz .LBB35_55
; %bb.53:
	v_lshl_or_b32 v2, s21, 4, v5
	s_lshl_b32 s0, s14, 4
	v_min_u32_e32 v5, s1, v7
	s_add_i32 s11, s11, s24
	v_perm_b32 v3, v3, v9, 0x5040100
	v_subrev_nc_u32_e32 v2, s0, v2
	s_mov_b32 s2, 0
	v_sub_nc_u32_e32 v5, v1, v5
	v_mov_b32_e32 v1, 0
	s_delay_alu instid0(VALU_DEP_3) | instskip(NEXT) | instid1(VALU_DEP_1)
	v_mul_lo_u32 v2, s8, v2
	v_add3_u32 v7, s11, v2, v6
	s_delay_alu instid0(VALU_DEP_4) | instskip(SKIP_2) | instid1(VALU_DEP_4)
	v_add_nc_u32_e32 v6, 3, v5
	v_perm_b32 v2, v8, v4, 0x5040100
	v_dual_mov_b32 v5, v1 :: v_dual_mov_b32 v4, v0
	v_mov_b32_e32 v0, v7
	.p2align	6
.LBB35_54:                              ; =>This Inner Loop Header: Depth=1
	s_delay_alu instid0(VALU_DEP_1) | instskip(SKIP_1) | instid1(VALU_DEP_4)
	v_lshlrev_b64 v[7:8], 1, v[0:1]
	v_add_nc_u32_e32 v6, 1, v6
	v_lshlrev_b32_e32 v9, 4, v4
	v_add_co_u32 v4, vcc_lo, v4, 1
	v_add_nc_u32_e32 v0, 1, v0
	s_delay_alu instid0(VALU_DEP_4)
	v_cmp_lt_u32_e64 s0, 2, v6
	v_add_co_u32 v7, s1, s4, v7
	v_lshrrev_b64 v[9:10], v9, v[2:3]
	v_add_co_ci_u32_e64 v8, s1, s5, v8, s1
	v_add_co_ci_u32_e32 v5, vcc_lo, 0, v5, vcc_lo
	s_or_b32 s2, s0, s2
	global_store_b16 v[7:8], v9, off
	s_and_not1_b32 exec_lo, exec_lo, s2
	s_cbranch_execnz .LBB35_54
.LBB35_55:
	s_endpgm
	.section	.rodata,"a",@progbits
	.p2align	6, 0x0
	.amdhsa_kernel Transform_H_S_111_16_16_VW_4
		.amdhsa_group_segment_fixed_size 0
		.amdhsa_private_segment_fixed_size 64
		.amdhsa_kernarg_size 344
		.amdhsa_user_sgpr_count 14
		.amdhsa_user_sgpr_dispatch_ptr 0
		.amdhsa_user_sgpr_queue_ptr 0
		.amdhsa_user_sgpr_kernarg_segment_ptr 1
		.amdhsa_user_sgpr_dispatch_id 0
		.amdhsa_user_sgpr_private_segment_size 0
		.amdhsa_wavefront_size32 1
		.amdhsa_uses_dynamic_stack 0
		.amdhsa_enable_private_segment 1
		.amdhsa_system_sgpr_workgroup_id_x 1
		.amdhsa_system_sgpr_workgroup_id_y 0
		.amdhsa_system_sgpr_workgroup_id_z 1
		.amdhsa_system_sgpr_workgroup_info 0
		.amdhsa_system_vgpr_workitem_id 0
		.amdhsa_next_free_vgpr 42
		.amdhsa_next_free_sgpr 34
		.amdhsa_reserve_vcc 1
		.amdhsa_float_round_mode_32 0
		.amdhsa_float_round_mode_16_64 0
		.amdhsa_float_denorm_mode_32 3
		.amdhsa_float_denorm_mode_16_64 3
		.amdhsa_dx10_clamp 1
		.amdhsa_ieee_mode 1
		.amdhsa_fp16_overflow 0
		.amdhsa_workgroup_processor_mode 1
		.amdhsa_memory_ordered 1
		.amdhsa_forward_progress 0
		.amdhsa_shared_vgpr_count 0
		.amdhsa_exception_fp_ieee_invalid_op 0
		.amdhsa_exception_fp_denorm_src 0
		.amdhsa_exception_fp_ieee_div_zero 0
		.amdhsa_exception_fp_ieee_overflow 0
		.amdhsa_exception_fp_ieee_underflow 0
		.amdhsa_exception_fp_ieee_inexact 0
		.amdhsa_exception_int_div_zero 0
	.end_amdhsa_kernel
	.text
.Lfunc_end35:
	.size	Transform_H_S_111_16_16_VW_4, .Lfunc_end35-Transform_H_S_111_16_16_VW_4
                                        ; -- End function
	.section	.AMDGPU.csdata,"",@progbits
; Kernel info:
; codeLenInByte = 1856
; NumSgprs: 36
; NumVgprs: 42
; ScratchSize: 64
; MemoryBound: 0
; FloatMode: 240
; IeeeMode: 1
; LDSByteSize: 0 bytes/workgroup (compile time only)
; SGPRBlocks: 4
; VGPRBlocks: 5
; NumSGPRsForWavesPerEU: 36
; NumVGPRsForWavesPerEU: 42
; Occupancy: 16
; WaveLimiterHint : 1
; COMPUTE_PGM_RSRC2:SCRATCH_EN: 1
; COMPUTE_PGM_RSRC2:USER_SGPR: 14
; COMPUTE_PGM_RSRC2:TRAP_HANDLER: 0
; COMPUTE_PGM_RSRC2:TGID_X_EN: 1
; COMPUTE_PGM_RSRC2:TGID_Y_EN: 0
; COMPUTE_PGM_RSRC2:TGID_Z_EN: 1
; COMPUTE_PGM_RSRC2:TIDIG_COMP_CNT: 0
	.text
	.protected	Transform_H_S_110_16_16_VW_1 ; -- Begin function Transform_H_S_110_16_16_VW_1
	.globl	Transform_H_S_110_16_16_VW_1
	.p2align	8
	.type	Transform_H_S_110_16_16_VW_1,@function
Transform_H_S_110_16_16_VW_1:           ; @Transform_H_S_110_16_16_VW_1
; %bb.0:
	s_mov_b64 s[22:23], s[0:1]
	s_load_b32 s0, s[0:1], 0x64
	v_mov_b32_e32 v41, v0
	s_mov_b32 s21, s15
	s_mov_b32 s24, s14
	s_mov_b32 s32, 0
	s_waitcnt lgkmcnt(0)
	v_cmp_eq_u16_e64 s0, 0x100, s0
	s_delay_alu instid0(VALU_DEP_1)
	s_and_b32 vcc_lo, exec_lo, s0
	s_mov_b32 s0, -1
	s_cbranch_vccnz .LBB36_2
; %bb.1:
	s_add_u32 s8, s22, 0x58
	s_addc_u32 s9, s23, 0
	s_getpc_b64 s[0:1]
	s_add_u32 s0, s0, __PRETTY_FUNCTION__._ZN10amd_detail9transformIDF16_fLb1ELb1ELb0ELj16ELj16ELj1EEEvPT_PKS1_S4_T0_PKS5_S5_S7_jjjjjjbb@rel32@lo+4
	s_addc_u32 s1, s1, __PRETTY_FUNCTION__._ZN10amd_detail9transformIDF16_fLb1ELb1ELb0ELj16ELj16ELj1EEEvPT_PKS1_S4_T0_PKS5_S5_S7_jjjjjjbb@rel32@hi+12
	s_delay_alu instid0(SALU_CYCLE_1) | instskip(SKIP_3) | instid1(SALU_CYCLE_1)
	v_dual_mov_b32 v0, s0 :: v_dual_mov_b32 v1, s1
	s_getpc_b64 s[2:3]
	s_add_u32 s2, s2, __assert_fail@rel32@lo+4
	s_addc_u32 s3, s3, __assert_fail@rel32@hi+12
	s_swappc_b64 s[30:31], s[2:3]
	; divergent unreachable
	s_mov_b32 s0, 0
.LBB36_2:
	s_delay_alu instid0(SALU_CYCLE_1)
	s_and_not1_b32 vcc_lo, exec_lo, s0
	s_cbranch_vccnz .LBB36_14
; %bb.3:
	s_load_b256 s[0:7], s[22:23], 0x38
	s_waitcnt lgkmcnt(0)
	s_and_b32 s7, s0, 15
	s_lshr_b32 s8, s0, 4
	s_cmp_lg_u32 s7, 0
	s_cselect_b32 s7, -1, 0
	s_delay_alu instid0(SALU_CYCLE_1) | instskip(SKIP_4) | instid1(VALU_DEP_1)
	s_cmp_lg_u32 s7, 0
	s_addc_u32 s10, s8, 0
	s_load_b64 s[8:9], s[22:23], 0x20
	v_cvt_f32_u32_e32 v0, s10
	s_sub_i32 s11, 0, s10
	v_rcp_iflag_f32_e32 v0, v0
	s_waitcnt_depctr 0xfff
	v_mul_f32_e32 v0, 0x4f7ffffe, v0
	s_delay_alu instid0(VALU_DEP_1) | instskip(NEXT) | instid1(VALU_DEP_1)
	v_cvt_u32_f32_e32 v0, v0
	v_readfirstlane_b32 s7, v0
	s_delay_alu instid0(VALU_DEP_1) | instskip(NEXT) | instid1(SALU_CYCLE_1)
	s_mul_i32 s11, s11, s7
	s_mul_hi_u32 s11, s7, s11
	s_delay_alu instid0(SALU_CYCLE_1)
	s_add_i32 s7, s7, s11
	s_waitcnt lgkmcnt(0)
	s_cmp_eq_u64 s[8:9], 0
	s_mul_hi_u32 s11, s24, s7
	s_cbranch_scc1 .LBB36_6
; %bb.4:
	s_load_b32 s7, s[8:9], 0x0
	s_load_b64 s[8:9], s[22:23], 0x30
	s_waitcnt lgkmcnt(0)
	s_cmp_eq_u64 s[8:9], 0
	s_cbranch_scc1 .LBB36_7
.LBB36_5:
	s_load_b32 s12, s[8:9], 0x0
	s_branch .LBB36_8
.LBB36_6:
	s_clause 0x1
	s_load_b32 s7, s[22:23], 0x18
	s_load_b64 s[8:9], s[22:23], 0x30
	s_waitcnt lgkmcnt(0)
	s_cmp_eq_u64 s[8:9], 0
	s_cbranch_scc0 .LBB36_5
.LBB36_7:
	s_load_b32 s12, s[22:23], 0x28
.LBB36_8:
	s_mul_i32 s8, s11, s10
	s_add_i32 s9, s11, 1
	s_sub_i32 s8, s24, s8
	v_and_b32_e32 v0, 15, v41
	s_sub_i32 s13, s8, s10
	s_cmp_ge_u32 s8, s10
	v_lshrrev_b32_e32 v1, 4, v41
	s_cselect_b32 s9, s9, s11
	s_cselect_b32 s8, s13, s8
	s_add_i32 s11, s9, 1
	s_cmp_ge_u32 s8, s10
	s_cselect_b32 s8, s11, s9
	s_delay_alu instid0(SALU_CYCLE_1) | instskip(SKIP_2) | instid1(SALU_CYCLE_1)
	s_mul_i32 s9, s8, s10
	v_lshl_add_u32 v1, s8, 4, v1
	s_sub_i32 s9, s24, s9
	v_lshl_or_b32 v0, s9, 4, v0
	s_delay_alu instid0(VALU_DEP_1) | instskip(NEXT) | instid1(VALU_DEP_3)
	v_cmp_gt_u32_e32 vcc_lo, s0, v0
	v_cmp_gt_u32_e64 s0, s1, v1
	s_delay_alu instid0(VALU_DEP_1) | instskip(NEXT) | instid1(SALU_CYCLE_1)
	s_and_b32 s0, vcc_lo, s0
	s_and_saveexec_b32 s1, s0
	s_cbranch_execz .LBB36_14
; %bb.9:
	s_clause 0x1
	s_load_b128 s[8:11], s[22:23], 0x0
	s_load_b64 s[0:1], s[22:23], 0x10
	v_dual_mov_b32 v3, 0 :: v_dual_mov_b32 v2, 0
	s_mul_i32 s21, s21, s5
	s_waitcnt lgkmcnt(0)
	s_cmp_eq_u64 s[10:11], 0
	s_cbranch_scc1 .LBB36_11
; %bb.10:
	s_bitcmp1_b32 s6, 0
	v_mov_b32_e32 v5, 0
	s_cselect_b32 vcc_lo, -1, 0
	v_cndmask_b32_e32 v2, v0, v1, vcc_lo
	v_cndmask_b32_e32 v4, v1, v0, vcc_lo
	s_delay_alu instid0(VALU_DEP_2) | instskip(NEXT) | instid1(VALU_DEP_1)
	v_mul_lo_u32 v2, v2, s2
	v_add3_u32 v4, v4, s21, v2
	s_delay_alu instid0(VALU_DEP_1) | instskip(NEXT) | instid1(VALU_DEP_1)
	v_lshlrev_b64 v[4:5], 1, v[4:5]
	v_add_co_u32 v4, vcc_lo, s10, v4
	s_delay_alu instid0(VALU_DEP_2)
	v_add_co_ci_u32_e32 v5, vcc_lo, s11, v5, vcc_lo
	global_load_u16 v2, v[4:5], off
	s_waitcnt vmcnt(0)
	v_cvt_f32_f16_e32 v2, v2
.LBB36_11:
	s_cmp_eq_u64 s[0:1], 0
	s_cbranch_scc1 .LBB36_13
; %bb.12:
	s_load_b32 s2, s[22:23], 0x50
	v_mov_b32_e32 v4, 0
	s_waitcnt lgkmcnt(0)
	s_bitcmp1_b32 s2, 8
	s_cselect_b32 vcc_lo, -1, 0
	v_cndmask_b32_e32 v3, v0, v1, vcc_lo
	v_cndmask_b32_e32 v5, v1, v0, vcc_lo
	s_delay_alu instid0(VALU_DEP_2) | instskip(NEXT) | instid1(VALU_DEP_1)
	v_mul_lo_u32 v3, v3, s3
	v_add3_u32 v3, v5, s21, v3
	s_delay_alu instid0(VALU_DEP_1) | instskip(NEXT) | instid1(VALU_DEP_1)
	v_lshlrev_b64 v[3:4], 1, v[3:4]
	v_add_co_u32 v3, vcc_lo, s0, v3
	s_delay_alu instid0(VALU_DEP_2)
	v_add_co_ci_u32_e32 v4, vcc_lo, s1, v4, vcc_lo
	global_load_u16 v3, v[3:4], off
	s_waitcnt vmcnt(0)
	v_cvt_f32_f16_e32 v3, v3
.LBB36_13:
	v_mul_lo_u32 v4, v1, s4
	v_mov_b32_e32 v1, 0
	s_delay_alu instid0(VALU_DEP_3) | instskip(NEXT) | instid1(VALU_DEP_1)
	v_mul_f32_e32 v3, s12, v3
	v_fma_mixlo_f16 v2, s7, v2, v3
	s_delay_alu instid0(VALU_DEP_4) | instskip(NEXT) | instid1(VALU_DEP_1)
	v_add3_u32 v0, v0, s21, v4
	v_lshlrev_b64 v[0:1], 1, v[0:1]
	s_delay_alu instid0(VALU_DEP_1) | instskip(NEXT) | instid1(VALU_DEP_2)
	v_add_co_u32 v0, vcc_lo, s8, v0
	v_add_co_ci_u32_e32 v1, vcc_lo, s9, v1, vcc_lo
	global_store_b16 v[0:1], v2, off
.LBB36_14:
	s_endpgm
	.section	.rodata,"a",@progbits
	.p2align	6, 0x0
	.amdhsa_kernel Transform_H_S_110_16_16_VW_1
		.amdhsa_group_segment_fixed_size 0
		.amdhsa_private_segment_fixed_size 64
		.amdhsa_kernarg_size 344
		.amdhsa_user_sgpr_count 14
		.amdhsa_user_sgpr_dispatch_ptr 0
		.amdhsa_user_sgpr_queue_ptr 0
		.amdhsa_user_sgpr_kernarg_segment_ptr 1
		.amdhsa_user_sgpr_dispatch_id 0
		.amdhsa_user_sgpr_private_segment_size 0
		.amdhsa_wavefront_size32 1
		.amdhsa_uses_dynamic_stack 0
		.amdhsa_enable_private_segment 1
		.amdhsa_system_sgpr_workgroup_id_x 1
		.amdhsa_system_sgpr_workgroup_id_y 0
		.amdhsa_system_sgpr_workgroup_id_z 1
		.amdhsa_system_sgpr_workgroup_info 0
		.amdhsa_system_vgpr_workitem_id 0
		.amdhsa_next_free_vgpr 42
		.amdhsa_next_free_sgpr 34
		.amdhsa_reserve_vcc 1
		.amdhsa_float_round_mode_32 0
		.amdhsa_float_round_mode_16_64 0
		.amdhsa_float_denorm_mode_32 3
		.amdhsa_float_denorm_mode_16_64 3
		.amdhsa_dx10_clamp 1
		.amdhsa_ieee_mode 1
		.amdhsa_fp16_overflow 0
		.amdhsa_workgroup_processor_mode 1
		.amdhsa_memory_ordered 1
		.amdhsa_forward_progress 0
		.amdhsa_shared_vgpr_count 0
		.amdhsa_exception_fp_ieee_invalid_op 0
		.amdhsa_exception_fp_denorm_src 0
		.amdhsa_exception_fp_ieee_div_zero 0
		.amdhsa_exception_fp_ieee_overflow 0
		.amdhsa_exception_fp_ieee_underflow 0
		.amdhsa_exception_fp_ieee_inexact 0
		.amdhsa_exception_int_div_zero 0
	.end_amdhsa_kernel
	.text
.Lfunc_end36:
	.size	Transform_H_S_110_16_16_VW_1, .Lfunc_end36-Transform_H_S_110_16_16_VW_1
                                        ; -- End function
	.section	.AMDGPU.csdata,"",@progbits
; Kernel info:
; codeLenInByte = 760
; NumSgprs: 36
; NumVgprs: 42
; ScratchSize: 64
; MemoryBound: 0
; FloatMode: 240
; IeeeMode: 1
; LDSByteSize: 0 bytes/workgroup (compile time only)
; SGPRBlocks: 4
; VGPRBlocks: 5
; NumSGPRsForWavesPerEU: 36
; NumVGPRsForWavesPerEU: 42
; Occupancy: 16
; WaveLimiterHint : 1
; COMPUTE_PGM_RSRC2:SCRATCH_EN: 1
; COMPUTE_PGM_RSRC2:USER_SGPR: 14
; COMPUTE_PGM_RSRC2:TRAP_HANDLER: 0
; COMPUTE_PGM_RSRC2:TGID_X_EN: 1
; COMPUTE_PGM_RSRC2:TGID_Y_EN: 0
; COMPUTE_PGM_RSRC2:TGID_Z_EN: 1
; COMPUTE_PGM_RSRC2:TIDIG_COMP_CNT: 0
	.text
	.protected	Transform_H_S_110_16_16_VW_4 ; -- Begin function Transform_H_S_110_16_16_VW_4
	.globl	Transform_H_S_110_16_16_VW_4
	.p2align	8
	.type	Transform_H_S_110_16_16_VW_4,@function
Transform_H_S_110_16_16_VW_4:           ; @Transform_H_S_110_16_16_VW_4
; %bb.0:
	s_mov_b64 s[22:23], s[0:1]
	s_load_b32 s0, s[0:1], 0x64
	v_mov_b32_e32 v41, v0
	s_mov_b32 s24, s15
	s_mov_b32 s21, s14
	;; [unrolled: 1-line block ×3, first 2 shown]
	s_waitcnt lgkmcnt(0)
	v_cmp_eq_u16_e64 s0, 0x100, s0
	s_delay_alu instid0(VALU_DEP_1)
	s_and_b32 vcc_lo, exec_lo, s0
	s_mov_b32 s0, -1
	s_cbranch_vccnz .LBB37_2
; %bb.1:
	s_add_u32 s8, s22, 0x58
	s_addc_u32 s9, s23, 0
	s_getpc_b64 s[0:1]
	s_add_u32 s0, s0, __PRETTY_FUNCTION__._ZN10amd_detail9transformIDF16_fLb1ELb1ELb0ELj16ELj16ELj4EEEvPT_PKS1_S4_T0_PKS5_S5_S7_jjjjjjbb@rel32@lo+4
	s_addc_u32 s1, s1, __PRETTY_FUNCTION__._ZN10amd_detail9transformIDF16_fLb1ELb1ELb0ELj16ELj16ELj4EEEvPT_PKS1_S4_T0_PKS5_S5_S7_jjjjjjbb@rel32@hi+12
	s_delay_alu instid0(SALU_CYCLE_1) | instskip(SKIP_3) | instid1(SALU_CYCLE_1)
	v_dual_mov_b32 v0, s0 :: v_dual_mov_b32 v1, s1
	s_getpc_b64 s[2:3]
	s_add_u32 s2, s2, __assert_fail@rel32@lo+4
	s_addc_u32 s3, s3, __assert_fail@rel32@hi+12
	s_swappc_b64 s[30:31], s[2:3]
	; divergent unreachable
	s_mov_b32 s0, 0
.LBB37_2:
	s_delay_alu instid0(SALU_CYCLE_1)
	s_and_not1_b32 vcc_lo, exec_lo, s0
	s_cbranch_vccnz .LBB37_55
; %bb.3:
	s_load_b256 s[4:11], s[22:23], 0x38
	s_waitcnt lgkmcnt(0)
	s_and_b32 s0, s4, 63
	s_lshr_b32 s1, s4, 6
	s_cmp_lg_u32 s0, 0
	s_cselect_b32 s0, -1, 0
	s_delay_alu instid0(SALU_CYCLE_1) | instskip(SKIP_4) | instid1(VALU_DEP_1)
	s_cmp_lg_u32 s0, 0
	s_addc_u32 s2, s1, 0
	s_load_b64 s[0:1], s[22:23], 0x20
	v_cvt_f32_u32_e32 v0, s2
	s_sub_i32 s11, 0, s2
	v_rcp_iflag_f32_e32 v0, v0
	s_waitcnt_depctr 0xfff
	v_mul_f32_e32 v0, 0x4f7ffffe, v0
	s_delay_alu instid0(VALU_DEP_1) | instskip(NEXT) | instid1(VALU_DEP_1)
	v_cvt_u32_f32_e32 v0, v0
	v_readfirstlane_b32 s3, v0
	s_delay_alu instid0(VALU_DEP_1) | instskip(NEXT) | instid1(SALU_CYCLE_1)
	s_mul_i32 s11, s11, s3
	s_mul_hi_u32 s11, s3, s11
	s_delay_alu instid0(SALU_CYCLE_1)
	s_add_i32 s3, s3, s11
	s_waitcnt lgkmcnt(0)
	s_cmp_eq_u64 s[0:1], 0
	s_mul_hi_u32 s3, s21, s3
	s_cbranch_scc1 .LBB37_6
; %bb.4:
	s_load_b32 s11, s[0:1], 0x0
	s_load_b64 s[0:1], s[22:23], 0x30
	s_waitcnt lgkmcnt(0)
	s_cmp_eq_u64 s[0:1], 0
	s_cbranch_scc1 .LBB37_7
.LBB37_5:
	s_load_b32 s16, s[0:1], 0x0
	s_branch .LBB37_8
.LBB37_6:
	s_clause 0x1
	s_load_b32 s11, s[22:23], 0x18
	s_load_b64 s[0:1], s[22:23], 0x30
	s_waitcnt lgkmcnt(0)
	s_cmp_eq_u64 s[0:1], 0
	s_cbranch_scc0 .LBB37_5
.LBB37_7:
	s_load_b32 s16, s[22:23], 0x28
.LBB37_8:
	s_mul_i32 s0, s3, s2
	s_add_i32 s1, s3, 1
	s_sub_i32 s0, s21, s0
	v_lshrrev_b32_e32 v0, 4, v41
	s_sub_i32 s12, s0, s2
	s_cmp_ge_u32 s0, s2
	s_cselect_b32 s1, s1, s3
	s_cselect_b32 s0, s12, s0
	s_add_i32 s3, s1, 1
	s_cmp_ge_u32 s0, s2
	s_mov_b32 s0, exec_lo
	s_cselect_b32 s1, s3, s1
	s_delay_alu instid0(SALU_CYCLE_1) | instskip(NEXT) | instid1(VALU_DEP_1)
	v_lshl_add_u32 v0, s1, 4, v0
	v_cmpx_gt_u32_e64 s5, v0
	s_cbranch_execz .LBB37_55
; %bb.9:
	v_dual_mov_b32 v12, 0 :: v_dual_lshlrev_b32 v1, 2, v41
	s_mul_i32 s1, s1, s2
	s_clause 0x1
	s_load_b128 s[12:15], s[22:23], 0x0
	s_load_b64 s[2:3], s[22:23], 0x10
	v_dual_mov_b32 v13, 0 :: v_dual_and_b32 v8, 60, v1
	s_sub_i32 s0, s21, s1
	s_bitcmp1_b32 s10, 0
	s_mul_i32 s24, s24, s9
	s_delay_alu instid0(VALU_DEP_1) | instskip(SKIP_1) | instid1(VALU_DEP_1)
	v_lshl_or_b32 v10, s0, 6, v8
	s_cselect_b32 vcc_lo, -1, 0
	v_add_nc_u32_e32 v11, 4, v10
	s_delay_alu instid0(VALU_DEP_1) | instskip(SKIP_3) | instid1(VALU_DEP_1)
	v_sub_nc_u32_e64 v9, v11, s4 clamp
	s_waitcnt lgkmcnt(0)
	s_cmp_lg_u64 s[14:15], 0
	s_cselect_b32 s5, -1, 0
	v_sub_nc_u32_e32 v4, v10, v9
	s_cmp_eq_u64 s[14:15], 0
	s_delay_alu instid0(VALU_DEP_1)
	v_mad_u64_u32 v[1:2], null, v0, s6, v[4:5]
	s_cbranch_scc1 .LBB37_11
; %bb.10:
	s_delay_alu instid0(VALU_DEP_1) | instskip(NEXT) | instid1(VALU_DEP_1)
	v_mad_u64_u32 v[2:3], null, v4, s6, v[0:1]
	v_dual_mov_b32 v3, 0 :: v_dual_cndmask_b32 v2, v2, v1
	s_delay_alu instid0(VALU_DEP_1) | instskip(NEXT) | instid1(VALU_DEP_1)
	v_add_nc_u32_e32 v2, s24, v2
	v_lshlrev_b64 v[2:3], 1, v[2:3]
	s_delay_alu instid0(VALU_DEP_1) | instskip(NEXT) | instid1(VALU_DEP_1)
	v_add_co_u32 v2, s0, s14, v2
	v_add_co_ci_u32_e64 v3, s0, s15, v3, s0
	global_load_u16 v2, v[2:3], off
	s_waitcnt vmcnt(0)
	v_cvt_f32_f16_e32 v12, v2
.LBB37_11:
	s_load_b32 s0, s[22:23], 0x50
	v_mad_u64_u32 v[2:3], null, v0, s7, v[4:5]
	s_xor_b32 s10, vcc_lo, -1
	s_waitcnt lgkmcnt(0)
	s_bitcmp1_b32 s0, 8
	s_cselect_b32 s0, -1, 0
	s_cmp_lg_u64 s[2:3], 0
	s_cselect_b32 s9, -1, 0
	s_cmp_eq_u64 s[2:3], 0
	s_cbranch_scc1 .LBB37_13
; %bb.12:
	v_mad_u64_u32 v[5:6], null, v4, s7, v[0:1]
	s_delay_alu instid0(VALU_DEP_1) | instskip(NEXT) | instid1(VALU_DEP_1)
	v_cndmask_b32_e64 v3, v5, v2, s0
	v_dual_mov_b32 v6, 0 :: v_dual_add_nc_u32 v5, s24, v3
	s_delay_alu instid0(VALU_DEP_1) | instskip(NEXT) | instid1(VALU_DEP_1)
	v_lshlrev_b64 v[5:6], 1, v[5:6]
	v_add_co_u32 v5, vcc_lo, s2, v5
	s_delay_alu instid0(VALU_DEP_2)
	v_add_co_ci_u32_e32 v6, vcc_lo, s3, v6, vcc_lo
	global_load_u16 v3, v[5:6], off
	s_waitcnt vmcnt(0)
	v_cvt_f32_f16_e32 v13, v3
.LBB37_13:
	v_cndmask_b32_e64 v3, 0, 1, s10
	s_and_not1_b32 vcc_lo, exec_lo, s10
	s_cbranch_vccnz .LBB37_15
; %bb.14:
	v_mul_lo_u32 v5, s6, v4
	s_delay_alu instid0(VALU_DEP_1)
	v_add3_u32 v5, v5, s6, v0
	s_xor_b32 s0, s0, -1
	s_cbranch_execz .LBB37_16
	s_branch .LBB37_17
.LBB37_15:
                                        ; implicit-def: $vgpr5
	s_xor_b32 s0, s0, -1
.LBB37_16:
	v_add_nc_u32_e32 v5, 1, v1
.LBB37_17:
	v_cndmask_b32_e64 v16, 0, 1, s0
	s_and_not1_b32 vcc_lo, exec_lo, s0
	s_cbranch_vccnz .LBB37_19
; %bb.18:
	v_mul_lo_u32 v6, s7, v4
	s_delay_alu instid0(VALU_DEP_1)
	v_add3_u32 v6, v6, s7, v0
	s_cbranch_execz .LBB37_20
	s_branch .LBB37_21
.LBB37_19:
                                        ; implicit-def: $vgpr6
.LBB37_20:
	v_add_nc_u32_e32 v6, 1, v2
.LBB37_21:
	v_cndmask_b32_e64 v17, 0, 1, s5
	v_dual_mov_b32 v15, 0 :: v_dual_mov_b32 v14, 0
	s_and_not1_b32 vcc_lo, exec_lo, s5
	s_cbranch_vccnz .LBB37_23
; %bb.22:
	v_dual_mov_b32 v19, 0 :: v_dual_add_nc_u32 v18, s24, v5
	s_delay_alu instid0(VALU_DEP_1) | instskip(NEXT) | instid1(VALU_DEP_1)
	v_lshlrev_b64 v[18:19], 1, v[18:19]
	v_add_co_u32 v18, vcc_lo, s14, v18
	s_delay_alu instid0(VALU_DEP_2)
	v_add_co_ci_u32_e32 v19, vcc_lo, s15, v19, vcc_lo
	global_load_u16 v5, v[18:19], off
	s_waitcnt vmcnt(0)
	v_cvt_f32_f16_e32 v14, v5
.LBB37_23:
	v_cndmask_b32_e64 v18, 0, 1, s9
	s_and_not1_b32 vcc_lo, exec_lo, s9
	s_cbranch_vccnz .LBB37_25
; %bb.24:
	v_dual_mov_b32 v6, 0 :: v_dual_add_nc_u32 v5, s24, v6
	s_delay_alu instid0(VALU_DEP_1) | instskip(NEXT) | instid1(VALU_DEP_1)
	v_lshlrev_b64 v[5:6], 1, v[5:6]
	v_add_co_u32 v5, vcc_lo, s2, v5
	s_delay_alu instid0(VALU_DEP_2)
	v_add_co_ci_u32_e32 v6, vcc_lo, s3, v6, vcc_lo
	global_load_u16 v5, v[5:6], off
	s_waitcnt vmcnt(0)
	v_cvt_f32_f16_e32 v15, v5
.LBB37_25:
	v_cmp_ne_u32_e32 vcc_lo, 1, v3
	v_add_nc_u32_e32 v19, 2, v4
	s_cbranch_vccnz .LBB37_27
; %bb.26:
	s_delay_alu instid0(VALU_DEP_1)
	v_mad_u64_u32 v[5:6], null, v19, s6, v[0:1]
	s_cbranch_execz .LBB37_28
	s_branch .LBB37_29
.LBB37_27:
                                        ; implicit-def: $vgpr5
.LBB37_28:
	v_add_nc_u32_e32 v5, 2, v1
.LBB37_29:
	v_cmp_ne_u32_e32 vcc_lo, 1, v16
	s_cbranch_vccnz .LBB37_31
; %bb.30:
	v_mad_u64_u32 v[6:7], null, v19, s7, v[0:1]
	s_cbranch_execz .LBB37_32
	s_branch .LBB37_33
.LBB37_31:
                                        ; implicit-def: $vgpr6
.LBB37_32:
	v_add_nc_u32_e32 v6, 2, v2
.LBB37_33:
	v_cmp_ne_u32_e32 vcc_lo, 1, v17
	v_mov_b32_e32 v19, 0
	v_mov_b32_e32 v7, 0
	s_cbranch_vccnz .LBB37_35
; %bb.34:
	v_dual_mov_b32 v21, 0 :: v_dual_add_nc_u32 v20, s24, v5
	s_delay_alu instid0(VALU_DEP_1) | instskip(NEXT) | instid1(VALU_DEP_1)
	v_lshlrev_b64 v[20:21], 1, v[20:21]
	v_add_co_u32 v20, vcc_lo, s14, v20
	s_delay_alu instid0(VALU_DEP_2)
	v_add_co_ci_u32_e32 v21, vcc_lo, s15, v21, vcc_lo
	global_load_u16 v5, v[20:21], off
	s_waitcnt vmcnt(0)
	v_cvt_f32_f16_e32 v7, v5
.LBB37_35:
	v_cmp_ne_u32_e32 vcc_lo, 1, v18
	s_cbranch_vccnz .LBB37_37
; %bb.36:
	v_dual_mov_b32 v6, 0 :: v_dual_add_nc_u32 v5, s24, v6
	s_delay_alu instid0(VALU_DEP_1) | instskip(NEXT) | instid1(VALU_DEP_1)
	v_lshlrev_b64 v[5:6], 1, v[5:6]
	v_add_co_u32 v5, vcc_lo, s2, v5
	s_delay_alu instid0(VALU_DEP_2)
	v_add_co_ci_u32_e32 v6, vcc_lo, s3, v6, vcc_lo
	global_load_u16 v5, v[5:6], off
	s_waitcnt vmcnt(0)
	v_cvt_f32_f16_e32 v19, v5
.LBB37_37:
	v_cmp_ne_u32_e32 vcc_lo, 1, v3
	v_add_nc_u32_e32 v6, 3, v4
	s_cbranch_vccnz .LBB37_39
; %bb.38:
	s_delay_alu instid0(VALU_DEP_1)
	v_mad_u64_u32 v[3:4], null, v6, s6, v[0:1]
	s_cbranch_execz .LBB37_40
	s_branch .LBB37_41
.LBB37_39:
                                        ; implicit-def: $vgpr3
.LBB37_40:
	v_add_nc_u32_e32 v3, 3, v1
.LBB37_41:
	v_cmp_ne_u32_e32 vcc_lo, 1, v16
	s_cbranch_vccnz .LBB37_43
; %bb.42:
	v_mad_u64_u32 v[4:5], null, v6, s7, v[0:1]
	s_cbranch_execz .LBB37_44
	s_branch .LBB37_45
.LBB37_43:
                                        ; implicit-def: $vgpr4
.LBB37_44:
	v_add_nc_u32_e32 v4, 3, v2
.LBB37_45:
	v_cmp_ne_u32_e32 vcc_lo, 1, v17
	v_dual_mov_b32 v2, 0 :: v_dual_mov_b32 v1, 0
	s_cbranch_vccnz .LBB37_47
; %bb.46:
	v_dual_mov_b32 v6, 0 :: v_dual_add_nc_u32 v5, s24, v3
	s_delay_alu instid0(VALU_DEP_1) | instskip(NEXT) | instid1(VALU_DEP_1)
	v_lshlrev_b64 v[5:6], 1, v[5:6]
	v_add_co_u32 v5, vcc_lo, s14, v5
	s_delay_alu instid0(VALU_DEP_2)
	v_add_co_ci_u32_e32 v6, vcc_lo, s15, v6, vcc_lo
	global_load_u16 v1, v[5:6], off
	s_waitcnt vmcnt(0)
	v_cvt_f32_f16_e32 v1, v1
.LBB37_47:
	v_cmp_ne_u32_e32 vcc_lo, 1, v18
	s_cbranch_vccnz .LBB37_49
; %bb.48:
	v_dual_mov_b32 v3, 0 :: v_dual_add_nc_u32 v2, s24, v4
	s_delay_alu instid0(VALU_DEP_1) | instskip(NEXT) | instid1(VALU_DEP_1)
	v_lshlrev_b64 v[2:3], 1, v[2:3]
	v_add_co_u32 v2, vcc_lo, s2, v2
	s_delay_alu instid0(VALU_DEP_2)
	v_add_co_ci_u32_e32 v3, vcc_lo, s3, v3, vcc_lo
	global_load_u16 v2, v[2:3], off
	s_waitcnt vmcnt(0)
	v_cvt_f32_f16_e32 v2, v2
.LBB37_49:
	v_dual_mul_f32 v3, s16, v13 :: v_dual_mul_f32 v4, s16, v15
	v_mul_f32_e32 v6, s16, v19
	s_delay_alu instid0(VALU_DEP_3) | instskip(SKIP_1) | instid1(VALU_DEP_4)
	v_mul_f32_e32 v2, s16, v2
	v_mul_lo_u32 v0, v0, s8
	v_fma_mixlo_f16 v5, s11, v12, v3
	v_fma_mixlo_f16 v4, s11, v14, v4
	;; [unrolled: 1-line block ×4, first 2 shown]
	s_mov_b32 s0, exec_lo
	v_cmpx_ge_u32_e64 s4, v11
	s_xor_b32 s0, exec_lo, s0
	s_cbranch_execz .LBB37_51
; %bb.50:
	v_add_nc_u32_e32 v1, s24, v10
	s_delay_alu instid0(VALU_DEP_1) | instskip(NEXT) | instid1(VALU_DEP_1)
	v_sub_nc_u32_e32 v6, v1, v9
	v_dual_mov_b32 v1, 0 :: v_dual_add_nc_u32 v0, v6, v0
	s_delay_alu instid0(VALU_DEP_1) | instskip(NEXT) | instid1(VALU_DEP_2)
	v_mov_b32_e32 v7, v1
	v_dual_mov_b32 v9, v1 :: v_dual_add_nc_u32 v8, 2, v0
	v_add_nc_u32_e32 v6, 1, v0
	v_lshlrev_b64 v[10:11], 1, v[0:1]
	v_add_nc_u32_e32 v0, 3, v0
	s_delay_alu instid0(VALU_DEP_4) | instskip(NEXT) | instid1(VALU_DEP_4)
	v_lshlrev_b64 v[8:9], 1, v[8:9]
	v_lshlrev_b64 v[6:7], 1, v[6:7]
	s_delay_alu instid0(VALU_DEP_4) | instskip(SKIP_2) | instid1(VALU_DEP_4)
	v_add_co_u32 v10, vcc_lo, s12, v10
	v_add_co_ci_u32_e32 v11, vcc_lo, s13, v11, vcc_lo
	v_lshlrev_b64 v[0:1], 1, v[0:1]
	v_add_co_u32 v6, vcc_lo, s12, v6
	v_add_co_ci_u32_e32 v7, vcc_lo, s13, v7, vcc_lo
	v_add_co_u32 v8, vcc_lo, s12, v8
	v_add_co_ci_u32_e32 v9, vcc_lo, s13, v9, vcc_lo
	;; [unrolled: 2-line block ×3, first 2 shown]
	s_clause 0x3
	global_store_b16 v[10:11], v5, off
	global_store_b16 v[6:7], v4, off
	;; [unrolled: 1-line block ×4, first 2 shown]
                                        ; implicit-def: $vgpr9
                                        ; implicit-def: $vgpr2
                                        ; implicit-def: $vgpr3
                                        ; implicit-def: $vgpr4
                                        ; implicit-def: $vgpr5
                                        ; implicit-def: $vgpr8
                                        ; implicit-def: $vgpr0
.LBB37_51:
	s_and_not1_saveexec_b32 s0, s0
	s_cbranch_execz .LBB37_55
; %bb.52:
	v_cmp_gt_u32_e32 vcc_lo, 4, v9
	s_and_b32 exec_lo, exec_lo, vcc_lo
	s_cbranch_execz .LBB37_55
; %bb.53:
	v_lshl_or_b32 v1, s21, 6, v8
	s_lshl_b32 s0, s1, 6
	v_perm_b32 v3, v2, v3, 0x5040100
	v_perm_b32 v2, v4, v5, 0x5040100
	s_mov_b32 s2, 0
	v_subrev_nc_u32_e32 v6, s0, v1
	v_add3_u32 v9, s24, v0, v1
	v_mov_b32_e32 v1, 0
	s_delay_alu instid0(VALU_DEP_3) | instskip(NEXT) | instid1(VALU_DEP_1)
	v_add_nc_u32_e32 v7, 4, v6
	v_min_u32_e32 v8, s4, v7
	s_delay_alu instid0(VALU_DEP_1) | instskip(SKIP_2) | instid1(VALU_DEP_3)
	v_sub_nc_u32_e32 v6, v6, v8
	v_sub_nc_u32_e32 v0, v7, v8
	v_subrev_nc_u32_e32 v7, s0, v9
	v_dual_mov_b32 v5, v1 :: v_dual_add_nc_u32 v6, 3, v6
	s_delay_alu instid0(VALU_DEP_3) | instskip(NEXT) | instid1(VALU_DEP_3)
	v_mov_b32_e32 v4, v0
	v_mov_b32_e32 v0, v7
	.p2align	6
.LBB37_54:                              ; =>This Inner Loop Header: Depth=1
	s_delay_alu instid0(VALU_DEP_1) | instskip(NEXT) | instid1(VALU_DEP_4)
	v_lshlrev_b64 v[7:8], 1, v[0:1]
	v_add_nc_u32_e32 v6, 1, v6
	s_delay_alu instid0(VALU_DEP_4) | instskip(SKIP_2) | instid1(VALU_DEP_4)
	v_lshlrev_b32_e32 v9, 4, v4
	v_add_co_u32 v4, vcc_lo, v4, 1
	v_add_nc_u32_e32 v0, 1, v0
	v_cmp_lt_u32_e64 s0, 2, v6
	v_add_co_u32 v7, s1, s12, v7
	v_lshrrev_b64 v[9:10], v9, v[2:3]
	v_add_co_ci_u32_e64 v8, s1, s13, v8, s1
	v_add_co_ci_u32_e32 v5, vcc_lo, 0, v5, vcc_lo
	s_or_b32 s2, s0, s2
	global_store_b16 v[7:8], v9, off
	s_and_not1_b32 exec_lo, exec_lo, s2
	s_cbranch_execnz .LBB37_54
.LBB37_55:
	s_endpgm
	.section	.rodata,"a",@progbits
	.p2align	6, 0x0
	.amdhsa_kernel Transform_H_S_110_16_16_VW_4
		.amdhsa_group_segment_fixed_size 0
		.amdhsa_private_segment_fixed_size 64
		.amdhsa_kernarg_size 344
		.amdhsa_user_sgpr_count 14
		.amdhsa_user_sgpr_dispatch_ptr 0
		.amdhsa_user_sgpr_queue_ptr 0
		.amdhsa_user_sgpr_kernarg_segment_ptr 1
		.amdhsa_user_sgpr_dispatch_id 0
		.amdhsa_user_sgpr_private_segment_size 0
		.amdhsa_wavefront_size32 1
		.amdhsa_uses_dynamic_stack 0
		.amdhsa_enable_private_segment 1
		.amdhsa_system_sgpr_workgroup_id_x 1
		.amdhsa_system_sgpr_workgroup_id_y 0
		.amdhsa_system_sgpr_workgroup_id_z 1
		.amdhsa_system_sgpr_workgroup_info 0
		.amdhsa_system_vgpr_workitem_id 0
		.amdhsa_next_free_vgpr 42
		.amdhsa_next_free_sgpr 34
		.amdhsa_reserve_vcc 1
		.amdhsa_float_round_mode_32 0
		.amdhsa_float_round_mode_16_64 0
		.amdhsa_float_denorm_mode_32 3
		.amdhsa_float_denorm_mode_16_64 3
		.amdhsa_dx10_clamp 1
		.amdhsa_ieee_mode 1
		.amdhsa_fp16_overflow 0
		.amdhsa_workgroup_processor_mode 1
		.amdhsa_memory_ordered 1
		.amdhsa_forward_progress 0
		.amdhsa_shared_vgpr_count 0
		.amdhsa_exception_fp_ieee_invalid_op 0
		.amdhsa_exception_fp_denorm_src 0
		.amdhsa_exception_fp_ieee_div_zero 0
		.amdhsa_exception_fp_ieee_overflow 0
		.amdhsa_exception_fp_ieee_underflow 0
		.amdhsa_exception_fp_ieee_inexact 0
		.amdhsa_exception_int_div_zero 0
	.end_amdhsa_kernel
	.text
.Lfunc_end37:
	.size	Transform_H_S_110_16_16_VW_4, .Lfunc_end37-Transform_H_S_110_16_16_VW_4
                                        ; -- End function
	.section	.AMDGPU.csdata,"",@progbits
; Kernel info:
; codeLenInByte = 1828
; NumSgprs: 36
; NumVgprs: 42
; ScratchSize: 64
; MemoryBound: 0
; FloatMode: 240
; IeeeMode: 1
; LDSByteSize: 0 bytes/workgroup (compile time only)
; SGPRBlocks: 4
; VGPRBlocks: 5
; NumSGPRsForWavesPerEU: 36
; NumVGPRsForWavesPerEU: 42
; Occupancy: 16
; WaveLimiterHint : 1
; COMPUTE_PGM_RSRC2:SCRATCH_EN: 1
; COMPUTE_PGM_RSRC2:USER_SGPR: 14
; COMPUTE_PGM_RSRC2:TRAP_HANDLER: 0
; COMPUTE_PGM_RSRC2:TGID_X_EN: 1
; COMPUTE_PGM_RSRC2:TGID_Y_EN: 0
; COMPUTE_PGM_RSRC2:TGID_Z_EN: 1
; COMPUTE_PGM_RSRC2:TIDIG_COMP_CNT: 0
	.text
	.protected	Transform_H_S_101_16_16_VW_1 ; -- Begin function Transform_H_S_101_16_16_VW_1
	.globl	Transform_H_S_101_16_16_VW_1
	.p2align	8
	.type	Transform_H_S_101_16_16_VW_1,@function
Transform_H_S_101_16_16_VW_1:           ; @Transform_H_S_101_16_16_VW_1
; %bb.0:
	s_mov_b64 s[22:23], s[0:1]
	s_load_b32 s0, s[0:1], 0x64
	v_mov_b32_e32 v41, v0
	s_mov_b32 s21, s15
	s_mov_b32 s24, s14
	;; [unrolled: 1-line block ×3, first 2 shown]
	s_waitcnt lgkmcnt(0)
	v_cmp_eq_u16_e64 s0, 0x100, s0
	s_delay_alu instid0(VALU_DEP_1)
	s_and_b32 vcc_lo, exec_lo, s0
	s_mov_b32 s0, -1
	s_cbranch_vccnz .LBB38_2
; %bb.1:
	s_add_u32 s8, s22, 0x58
	s_addc_u32 s9, s23, 0
	s_getpc_b64 s[0:1]
	s_add_u32 s0, s0, __PRETTY_FUNCTION__._ZN10amd_detail9transformIDF16_fLb1ELb0ELb1ELj16ELj16ELj1EEEvPT_PKS1_S4_T0_PKS5_S5_S7_jjjjjjbb@rel32@lo+4
	s_addc_u32 s1, s1, __PRETTY_FUNCTION__._ZN10amd_detail9transformIDF16_fLb1ELb0ELb1ELj16ELj16ELj1EEEvPT_PKS1_S4_T0_PKS5_S5_S7_jjjjjjbb@rel32@hi+12
	s_delay_alu instid0(SALU_CYCLE_1) | instskip(SKIP_3) | instid1(SALU_CYCLE_1)
	v_dual_mov_b32 v0, s0 :: v_dual_mov_b32 v1, s1
	s_getpc_b64 s[2:3]
	s_add_u32 s2, s2, __assert_fail@rel32@lo+4
	s_addc_u32 s3, s3, __assert_fail@rel32@hi+12
	s_swappc_b64 s[30:31], s[2:3]
	; divergent unreachable
	s_mov_b32 s0, 0
.LBB38_2:
	s_delay_alu instid0(SALU_CYCLE_1)
	s_and_not1_b32 vcc_lo, exec_lo, s0
	s_cbranch_vccnz .LBB38_14
; %bb.3:
	s_load_b256 s[0:7], s[22:23], 0x38
	s_waitcnt lgkmcnt(0)
	s_and_b32 s7, s0, 15
	s_lshr_b32 s8, s0, 4
	s_cmp_lg_u32 s7, 0
	s_cselect_b32 s7, -1, 0
	s_delay_alu instid0(SALU_CYCLE_1) | instskip(SKIP_4) | instid1(VALU_DEP_1)
	s_cmp_lg_u32 s7, 0
	s_addc_u32 s10, s8, 0
	s_load_b64 s[8:9], s[22:23], 0x20
	v_cvt_f32_u32_e32 v0, s10
	s_sub_i32 s11, 0, s10
	v_rcp_iflag_f32_e32 v0, v0
	s_waitcnt_depctr 0xfff
	v_mul_f32_e32 v0, 0x4f7ffffe, v0
	s_delay_alu instid0(VALU_DEP_1) | instskip(NEXT) | instid1(VALU_DEP_1)
	v_cvt_u32_f32_e32 v0, v0
	v_readfirstlane_b32 s7, v0
	s_delay_alu instid0(VALU_DEP_1) | instskip(NEXT) | instid1(SALU_CYCLE_1)
	s_mul_i32 s11, s11, s7
	s_mul_hi_u32 s11, s7, s11
	s_delay_alu instid0(SALU_CYCLE_1)
	s_add_i32 s7, s7, s11
	s_waitcnt lgkmcnt(0)
	s_cmp_eq_u64 s[8:9], 0
	s_mul_hi_u32 s11, s24, s7
	s_cbranch_scc1 .LBB38_6
; %bb.4:
	s_load_b32 s7, s[8:9], 0x0
	s_load_b64 s[8:9], s[22:23], 0x30
	s_waitcnt lgkmcnt(0)
	s_cmp_eq_u64 s[8:9], 0
	s_cbranch_scc1 .LBB38_7
.LBB38_5:
	s_load_b32 s12, s[8:9], 0x0
	s_branch .LBB38_8
.LBB38_6:
	s_clause 0x1
	s_load_b32 s7, s[22:23], 0x18
	s_load_b64 s[8:9], s[22:23], 0x30
	s_waitcnt lgkmcnt(0)
	s_cmp_eq_u64 s[8:9], 0
	s_cbranch_scc0 .LBB38_5
.LBB38_7:
	s_load_b32 s12, s[22:23], 0x28
.LBB38_8:
	s_mul_i32 s8, s11, s10
	s_add_i32 s9, s11, 1
	s_sub_i32 s8, s24, s8
	v_and_b32_e32 v0, 15, v41
	s_sub_i32 s13, s8, s10
	s_cmp_ge_u32 s8, s10
	v_lshrrev_b32_e32 v2, 4, v41
	s_cselect_b32 s9, s9, s11
	s_cselect_b32 s8, s13, s8
	s_add_i32 s11, s9, 1
	s_cmp_ge_u32 s8, s10
	s_cselect_b32 s8, s11, s9
	s_delay_alu instid0(SALU_CYCLE_1) | instskip(NEXT) | instid1(SALU_CYCLE_1)
	s_mul_i32 s9, s8, s10
	s_sub_i32 s9, s24, s9
	s_delay_alu instid0(SALU_CYCLE_1) | instskip(SKIP_1) | instid1(VALU_DEP_2)
	v_lshl_or_b32 v1, s9, 4, v0
	v_lshl_add_u32 v0, s8, 4, v2
	v_cmp_gt_u32_e32 vcc_lo, s0, v1
	s_delay_alu instid0(VALU_DEP_2) | instskip(NEXT) | instid1(VALU_DEP_1)
	v_cmp_gt_u32_e64 s0, s1, v0
	s_and_b32 s0, vcc_lo, s0
	s_delay_alu instid0(SALU_CYCLE_1)
	s_and_saveexec_b32 s1, s0
	s_cbranch_execz .LBB38_14
; %bb.9:
	s_clause 0x1
	s_load_b128 s[8:11], s[22:23], 0x0
	s_load_b64 s[0:1], s[22:23], 0x10
	v_dual_mov_b32 v3, 0 :: v_dual_mov_b32 v2, 0
	s_mul_i32 s21, s21, s5
	s_waitcnt lgkmcnt(0)
	s_cmp_eq_u64 s[10:11], 0
	s_cbranch_scc1 .LBB38_11
; %bb.10:
	s_bitcmp1_b32 s6, 0
	v_mov_b32_e32 v5, 0
	s_cselect_b32 vcc_lo, -1, 0
	v_cndmask_b32_e32 v2, v1, v0, vcc_lo
	v_cndmask_b32_e32 v4, v0, v1, vcc_lo
	s_delay_alu instid0(VALU_DEP_2) | instskip(NEXT) | instid1(VALU_DEP_1)
	v_mul_lo_u32 v2, v2, s2
	v_add3_u32 v4, v4, s21, v2
	s_delay_alu instid0(VALU_DEP_1) | instskip(NEXT) | instid1(VALU_DEP_1)
	v_lshlrev_b64 v[4:5], 1, v[4:5]
	v_add_co_u32 v4, vcc_lo, s10, v4
	s_delay_alu instid0(VALU_DEP_2)
	v_add_co_ci_u32_e32 v5, vcc_lo, s11, v5, vcc_lo
	global_load_u16 v2, v[4:5], off
	s_waitcnt vmcnt(0)
	v_cvt_f32_f16_e32 v2, v2
.LBB38_11:
	s_cmp_eq_u64 s[0:1], 0
	s_cbranch_scc1 .LBB38_13
; %bb.12:
	s_load_b32 s2, s[22:23], 0x50
	v_mov_b32_e32 v4, 0
	s_waitcnt lgkmcnt(0)
	s_bitcmp1_b32 s2, 8
	s_cselect_b32 vcc_lo, -1, 0
	v_cndmask_b32_e32 v3, v0, v1, vcc_lo
	v_cndmask_b32_e32 v5, v1, v0, vcc_lo
	s_delay_alu instid0(VALU_DEP_2) | instskip(NEXT) | instid1(VALU_DEP_1)
	v_mul_lo_u32 v3, v3, s3
	v_add3_u32 v3, v5, s21, v3
	s_delay_alu instid0(VALU_DEP_1) | instskip(NEXT) | instid1(VALU_DEP_1)
	v_lshlrev_b64 v[3:4], 1, v[3:4]
	v_add_co_u32 v3, vcc_lo, s0, v3
	s_delay_alu instid0(VALU_DEP_2)
	v_add_co_ci_u32_e32 v4, vcc_lo, s1, v4, vcc_lo
	global_load_u16 v3, v[3:4], off
	s_waitcnt vmcnt(0)
	v_cvt_f32_f16_e32 v3, v3
.LBB38_13:
	v_mul_lo_u32 v4, v1, s4
	v_mov_b32_e32 v1, 0
	s_delay_alu instid0(VALU_DEP_3) | instskip(NEXT) | instid1(VALU_DEP_1)
	v_mul_f32_e32 v3, s12, v3
	v_fma_mixlo_f16 v2, s7, v2, v3
	s_delay_alu instid0(VALU_DEP_4) | instskip(NEXT) | instid1(VALU_DEP_1)
	v_add3_u32 v0, v0, s21, v4
	v_lshlrev_b64 v[0:1], 1, v[0:1]
	s_delay_alu instid0(VALU_DEP_1) | instskip(NEXT) | instid1(VALU_DEP_2)
	v_add_co_u32 v0, vcc_lo, s8, v0
	v_add_co_ci_u32_e32 v1, vcc_lo, s9, v1, vcc_lo
	global_store_b16 v[0:1], v2, off
.LBB38_14:
	s_endpgm
	.section	.rodata,"a",@progbits
	.p2align	6, 0x0
	.amdhsa_kernel Transform_H_S_101_16_16_VW_1
		.amdhsa_group_segment_fixed_size 0
		.amdhsa_private_segment_fixed_size 64
		.amdhsa_kernarg_size 344
		.amdhsa_user_sgpr_count 14
		.amdhsa_user_sgpr_dispatch_ptr 0
		.amdhsa_user_sgpr_queue_ptr 0
		.amdhsa_user_sgpr_kernarg_segment_ptr 1
		.amdhsa_user_sgpr_dispatch_id 0
		.amdhsa_user_sgpr_private_segment_size 0
		.amdhsa_wavefront_size32 1
		.amdhsa_uses_dynamic_stack 0
		.amdhsa_enable_private_segment 1
		.amdhsa_system_sgpr_workgroup_id_x 1
		.amdhsa_system_sgpr_workgroup_id_y 0
		.amdhsa_system_sgpr_workgroup_id_z 1
		.amdhsa_system_sgpr_workgroup_info 0
		.amdhsa_system_vgpr_workitem_id 0
		.amdhsa_next_free_vgpr 42
		.amdhsa_next_free_sgpr 34
		.amdhsa_reserve_vcc 1
		.amdhsa_float_round_mode_32 0
		.amdhsa_float_round_mode_16_64 0
		.amdhsa_float_denorm_mode_32 3
		.amdhsa_float_denorm_mode_16_64 3
		.amdhsa_dx10_clamp 1
		.amdhsa_ieee_mode 1
		.amdhsa_fp16_overflow 0
		.amdhsa_workgroup_processor_mode 1
		.amdhsa_memory_ordered 1
		.amdhsa_forward_progress 0
		.amdhsa_shared_vgpr_count 0
		.amdhsa_exception_fp_ieee_invalid_op 0
		.amdhsa_exception_fp_denorm_src 0
		.amdhsa_exception_fp_ieee_div_zero 0
		.amdhsa_exception_fp_ieee_overflow 0
		.amdhsa_exception_fp_ieee_underflow 0
		.amdhsa_exception_fp_ieee_inexact 0
		.amdhsa_exception_int_div_zero 0
	.end_amdhsa_kernel
	.text
.Lfunc_end38:
	.size	Transform_H_S_101_16_16_VW_1, .Lfunc_end38-Transform_H_S_101_16_16_VW_1
                                        ; -- End function
	.section	.AMDGPU.csdata,"",@progbits
; Kernel info:
; codeLenInByte = 764
; NumSgprs: 36
; NumVgprs: 42
; ScratchSize: 64
; MemoryBound: 0
; FloatMode: 240
; IeeeMode: 1
; LDSByteSize: 0 bytes/workgroup (compile time only)
; SGPRBlocks: 4
; VGPRBlocks: 5
; NumSGPRsForWavesPerEU: 36
; NumVGPRsForWavesPerEU: 42
; Occupancy: 16
; WaveLimiterHint : 1
; COMPUTE_PGM_RSRC2:SCRATCH_EN: 1
; COMPUTE_PGM_RSRC2:USER_SGPR: 14
; COMPUTE_PGM_RSRC2:TRAP_HANDLER: 0
; COMPUTE_PGM_RSRC2:TGID_X_EN: 1
; COMPUTE_PGM_RSRC2:TGID_Y_EN: 0
; COMPUTE_PGM_RSRC2:TGID_Z_EN: 1
; COMPUTE_PGM_RSRC2:TIDIG_COMP_CNT: 0
	.text
	.protected	Transform_H_S_101_16_16_VW_4 ; -- Begin function Transform_H_S_101_16_16_VW_4
	.globl	Transform_H_S_101_16_16_VW_4
	.p2align	8
	.type	Transform_H_S_101_16_16_VW_4,@function
Transform_H_S_101_16_16_VW_4:           ; @Transform_H_S_101_16_16_VW_4
; %bb.0:
	s_mov_b64 s[22:23], s[0:1]
	s_load_b32 s0, s[0:1], 0x64
	v_mov_b32_e32 v41, v0
	s_mov_b32 s24, s15
	s_mov_b32 s21, s14
	;; [unrolled: 1-line block ×3, first 2 shown]
	s_waitcnt lgkmcnt(0)
	v_cmp_eq_u16_e64 s0, 0x100, s0
	s_delay_alu instid0(VALU_DEP_1)
	s_and_b32 vcc_lo, exec_lo, s0
	s_mov_b32 s0, -1
	s_cbranch_vccnz .LBB39_2
; %bb.1:
	s_add_u32 s8, s22, 0x58
	s_addc_u32 s9, s23, 0
	s_getpc_b64 s[0:1]
	s_add_u32 s0, s0, __PRETTY_FUNCTION__._ZN10amd_detail9transformIDF16_fLb1ELb0ELb1ELj16ELj16ELj4EEEvPT_PKS1_S4_T0_PKS5_S5_S7_jjjjjjbb@rel32@lo+4
	s_addc_u32 s1, s1, __PRETTY_FUNCTION__._ZN10amd_detail9transformIDF16_fLb1ELb0ELb1ELj16ELj16ELj4EEEvPT_PKS1_S4_T0_PKS5_S5_S7_jjjjjjbb@rel32@hi+12
	s_delay_alu instid0(SALU_CYCLE_1) | instskip(SKIP_3) | instid1(SALU_CYCLE_1)
	v_dual_mov_b32 v0, s0 :: v_dual_mov_b32 v1, s1
	s_getpc_b64 s[2:3]
	s_add_u32 s2, s2, __assert_fail@rel32@lo+4
	s_addc_u32 s3, s3, __assert_fail@rel32@hi+12
	s_swappc_b64 s[30:31], s[2:3]
	; divergent unreachable
	s_mov_b32 s0, 0
.LBB39_2:
	s_delay_alu instid0(SALU_CYCLE_1)
	s_and_not1_b32 vcc_lo, exec_lo, s0
	s_cbranch_vccnz .LBB39_55
; %bb.3:
	s_load_b128 s[0:3], s[22:23], 0x38
	s_waitcnt lgkmcnt(0)
	s_and_b32 s4, s0, 15
	s_lshr_b32 s5, s0, 4
	s_cmp_lg_u32 s4, 0
	s_cselect_b32 s4, -1, 0
	s_delay_alu instid0(SALU_CYCLE_1) | instskip(SKIP_4) | instid1(VALU_DEP_1)
	s_cmp_lg_u32 s4, 0
	s_addc_u32 s6, s5, 0
	s_load_b64 s[4:5], s[22:23], 0x20
	v_cvt_f32_u32_e32 v0, s6
	s_sub_i32 s8, 0, s6
	v_rcp_iflag_f32_e32 v0, v0
	s_waitcnt_depctr 0xfff
	v_mul_f32_e32 v0, 0x4f7ffffe, v0
	s_delay_alu instid0(VALU_DEP_1) | instskip(NEXT) | instid1(VALU_DEP_1)
	v_cvt_u32_f32_e32 v0, v0
	v_readfirstlane_b32 s7, v0
	s_delay_alu instid0(VALU_DEP_1) | instskip(NEXT) | instid1(SALU_CYCLE_1)
	s_mul_i32 s8, s8, s7
	s_mul_hi_u32 s8, s7, s8
	s_delay_alu instid0(SALU_CYCLE_1)
	s_add_i32 s7, s7, s8
	s_waitcnt lgkmcnt(0)
	s_cmp_eq_u64 s[4:5], 0
	s_mul_hi_u32 s7, s21, s7
	s_cbranch_scc1 .LBB39_6
; %bb.4:
	s_load_b32 s15, s[4:5], 0x0
	s_load_b64 s[4:5], s[22:23], 0x30
	s_waitcnt lgkmcnt(0)
	s_cmp_eq_u64 s[4:5], 0
	s_cbranch_scc1 .LBB39_7
.LBB39_5:
	s_load_b32 s16, s[4:5], 0x0
	s_branch .LBB39_8
.LBB39_6:
	s_clause 0x1
	s_load_b32 s15, s[22:23], 0x18
	s_load_b64 s[4:5], s[22:23], 0x30
	s_waitcnt lgkmcnt(0)
	s_cmp_eq_u64 s[4:5], 0
	s_cbranch_scc0 .LBB39_5
.LBB39_7:
	s_load_b32 s16, s[22:23], 0x28
.LBB39_8:
	s_mul_i32 s4, s7, s6
	s_add_i32 s5, s7, 1
	s_sub_i32 s4, s21, s4
	v_and_b32_e32 v6, 15, v41
	s_sub_i32 s8, s4, s6
	s_cmp_ge_u32 s4, s6
	s_cselect_b32 s5, s5, s7
	s_cselect_b32 s4, s8, s4
	s_add_i32 s7, s5, 1
	s_cmp_ge_u32 s4, s6
	s_cselect_b32 s12, s7, s5
	s_delay_alu instid0(SALU_CYCLE_1) | instskip(NEXT) | instid1(SALU_CYCLE_1)
	s_mul_i32 s14, s12, s6
	s_sub_i32 s4, s21, s14
	s_delay_alu instid0(SALU_CYCLE_1) | instskip(NEXT) | instid1(VALU_DEP_1)
	v_lshl_or_b32 v2, s4, 4, v6
	v_cmp_gt_u32_e32 vcc_lo, s0, v2
	s_and_saveexec_b32 s0, vcc_lo
	s_cbranch_execz .LBB39_55
; %bb.9:
	v_lshrrev_b32_e32 v0, 2, v41
	s_clause 0x1
	s_load_b128 s[8:11], s[22:23], 0x48
	s_load_b128 s[4:7], s[22:23], 0x0
	s_waitcnt lgkmcnt(0)
	s_lshl_b32 s11, s12, 6
	s_load_b64 s[12:13], s[22:23], 0x10
	v_dual_mov_b32 v10, 0 :: v_dual_and_b32 v7, 0xfc, v0
	v_mov_b32_e32 v9, 0
	s_delay_alu instid0(VALU_DEP_2) | instskip(NEXT) | instid1(VALU_DEP_1)
	v_add_nc_u32_e32 v1, s11, v7
	v_add_nc_u32_e32 v8, 4, v1
	v_mad_u64_u32 v[3:4], null, v2, s2, v[1:2]
	s_bitcmp1_b32 s10, 0
	s_delay_alu instid0(VALU_DEP_2) | instskip(SKIP_4) | instid1(VALU_DEP_2)
	v_sub_nc_u32_e64 v0, v8, s1 clamp
	s_cselect_b32 vcc_lo, -1, 0
	s_cmp_lg_u64 s[6:7], 0
	s_mul_i32 s24, s24, s9
	s_cselect_b32 s10, -1, 0
	v_sub_nc_u32_e32 v13, v3, v0
	v_sub_nc_u32_e32 v11, v1, v0
	s_cmp_eq_u64 s[6:7], 0
	s_cbranch_scc1 .LBB39_11
; %bb.10:
	s_delay_alu instid0(VALU_DEP_1) | instskip(NEXT) | instid1(VALU_DEP_1)
	v_mad_u64_u32 v[3:4], null, v11, s2, v[2:3]
	v_dual_mov_b32 v4, 0 :: v_dual_cndmask_b32 v3, v13, v3
	s_delay_alu instid0(VALU_DEP_1) | instskip(NEXT) | instid1(VALU_DEP_1)
	v_add_nc_u32_e32 v3, s24, v3
	v_lshlrev_b64 v[3:4], 1, v[3:4]
	s_delay_alu instid0(VALU_DEP_1) | instskip(NEXT) | instid1(VALU_DEP_1)
	v_add_co_u32 v3, s0, s6, v3
	v_add_co_ci_u32_e64 v4, s0, s7, v4, s0
	global_load_u16 v3, v[3:4], off
	s_waitcnt vmcnt(0)
	v_cvt_f32_f16_e32 v9, v3
.LBB39_11:
	s_load_b32 s0, s[22:23], 0x50
	v_mad_u64_u32 v[3:4], null, v2, s3, v[1:2]
	s_xor_b32 s17, vcc_lo, -1
	s_delay_alu instid0(VALU_DEP_1)
	v_sub_nc_u32_e32 v12, v3, v0
	s_waitcnt lgkmcnt(0)
	s_bitcmp1_b32 s0, 8
	s_cselect_b32 s0, -1, 0
	s_cmp_lg_u64 s[12:13], 0
	s_cselect_b32 s9, -1, 0
	s_cmp_eq_u64 s[12:13], 0
	s_cbranch_scc1 .LBB39_13
; %bb.12:
	v_mad_u64_u32 v[3:4], null, v11, s3, v[2:3]
	s_delay_alu instid0(VALU_DEP_1) | instskip(NEXT) | instid1(VALU_DEP_1)
	v_cndmask_b32_e64 v3, v3, v12, s0
	v_dual_mov_b32 v4, 0 :: v_dual_add_nc_u32 v3, s24, v3
	s_delay_alu instid0(VALU_DEP_1) | instskip(NEXT) | instid1(VALU_DEP_1)
	v_lshlrev_b64 v[3:4], 1, v[3:4]
	v_add_co_u32 v3, vcc_lo, s12, v3
	s_delay_alu instid0(VALU_DEP_2)
	v_add_co_ci_u32_e32 v4, vcc_lo, s13, v4, vcc_lo
	global_load_u16 v3, v[3:4], off
	s_waitcnt vmcnt(0)
	v_cvt_f32_f16_e32 v10, v3
.LBB39_13:
	v_cndmask_b32_e64 v16, 0, 1, s17
	s_and_not1_b32 vcc_lo, exec_lo, s17
	s_cbranch_vccnz .LBB39_15
; %bb.14:
	v_add_nc_u32_e32 v3, 1, v13
	s_xor_b32 s0, s0, -1
	s_cbranch_execz .LBB39_16
	s_branch .LBB39_17
.LBB39_15:
                                        ; implicit-def: $vgpr3
	s_xor_b32 s0, s0, -1
.LBB39_16:
	v_mul_lo_u32 v3, s2, v11
	s_delay_alu instid0(VALU_DEP_1)
	v_add3_u32 v3, v3, s2, v2
.LBB39_17:
	v_cndmask_b32_e64 v17, 0, 1, s0
	s_and_not1_b32 vcc_lo, exec_lo, s0
	s_cbranch_vccnz .LBB39_19
; %bb.18:
	v_mul_lo_u32 v4, s3, v11
	s_delay_alu instid0(VALU_DEP_1)
	v_add3_u32 v4, v4, s3, v2
	s_cbranch_execz .LBB39_20
	s_branch .LBB39_21
.LBB39_19:
                                        ; implicit-def: $vgpr4
.LBB39_20:
	v_add_nc_u32_e32 v4, 1, v12
.LBB39_21:
	v_cndmask_b32_e64 v18, 0, 1, s10
	v_dual_mov_b32 v15, 0 :: v_dual_mov_b32 v14, 0
	s_and_not1_b32 vcc_lo, exec_lo, s10
	s_cbranch_vccnz .LBB39_23
; %bb.22:
	v_dual_mov_b32 v20, 0 :: v_dual_add_nc_u32 v19, s24, v3
	s_delay_alu instid0(VALU_DEP_1) | instskip(NEXT) | instid1(VALU_DEP_1)
	v_lshlrev_b64 v[19:20], 1, v[19:20]
	v_add_co_u32 v19, vcc_lo, s6, v19
	s_delay_alu instid0(VALU_DEP_2)
	v_add_co_ci_u32_e32 v20, vcc_lo, s7, v20, vcc_lo
	global_load_u16 v3, v[19:20], off
	s_waitcnt vmcnt(0)
	v_cvt_f32_f16_e32 v14, v3
.LBB39_23:
	v_cndmask_b32_e64 v19, 0, 1, s9
	s_and_not1_b32 vcc_lo, exec_lo, s9
	s_cbranch_vccnz .LBB39_25
; %bb.24:
	v_dual_mov_b32 v4, 0 :: v_dual_add_nc_u32 v3, s24, v4
	s_delay_alu instid0(VALU_DEP_1) | instskip(NEXT) | instid1(VALU_DEP_1)
	v_lshlrev_b64 v[3:4], 1, v[3:4]
	v_add_co_u32 v3, vcc_lo, s12, v3
	s_delay_alu instid0(VALU_DEP_2)
	v_add_co_ci_u32_e32 v4, vcc_lo, s13, v4, vcc_lo
	global_load_u16 v3, v[3:4], off
	s_waitcnt vmcnt(0)
	v_cvt_f32_f16_e32 v15, v3
.LBB39_25:
	v_cmp_ne_u32_e32 vcc_lo, 1, v16
	s_cbranch_vccnz .LBB39_27
; %bb.26:
	v_add_nc_u32_e32 v3, 2, v13
	v_add_nc_u32_e32 v20, 2, v11
	s_cbranch_execz .LBB39_28
	s_branch .LBB39_29
.LBB39_27:
                                        ; implicit-def: $vgpr3
	v_add_nc_u32_e32 v20, 2, v11
.LBB39_28:
	s_delay_alu instid0(VALU_DEP_1)
	v_mad_u64_u32 v[3:4], null, v20, s2, v[2:3]
.LBB39_29:
	v_cmp_ne_u32_e32 vcc_lo, 1, v17
	s_cbranch_vccnz .LBB39_31
; %bb.30:
	s_delay_alu instid0(VALU_DEP_2)
	v_mad_u64_u32 v[4:5], null, v20, s3, v[2:3]
	s_cbranch_execz .LBB39_32
	s_branch .LBB39_33
.LBB39_31:
                                        ; implicit-def: $vgpr4
.LBB39_32:
	v_add_nc_u32_e32 v4, 2, v12
.LBB39_33:
	v_cmp_ne_u32_e32 vcc_lo, 1, v18
	v_dual_mov_b32 v21, 0 :: v_dual_mov_b32 v20, 0
	s_cbranch_vccnz .LBB39_35
; %bb.34:
	v_dual_mov_b32 v23, 0 :: v_dual_add_nc_u32 v22, s24, v3
	s_delay_alu instid0(VALU_DEP_1) | instskip(NEXT) | instid1(VALU_DEP_1)
	v_lshlrev_b64 v[22:23], 1, v[22:23]
	v_add_co_u32 v22, vcc_lo, s6, v22
	s_delay_alu instid0(VALU_DEP_2)
	v_add_co_ci_u32_e32 v23, vcc_lo, s7, v23, vcc_lo
	global_load_u16 v3, v[22:23], off
	s_waitcnt vmcnt(0)
	v_cvt_f32_f16_e32 v20, v3
.LBB39_35:
	v_cmp_ne_u32_e32 vcc_lo, 1, v19
	s_cbranch_vccnz .LBB39_37
; %bb.36:
	v_dual_mov_b32 v4, 0 :: v_dual_add_nc_u32 v3, s24, v4
	s_delay_alu instid0(VALU_DEP_1) | instskip(NEXT) | instid1(VALU_DEP_1)
	v_lshlrev_b64 v[3:4], 1, v[3:4]
	v_add_co_u32 v3, vcc_lo, s12, v3
	s_delay_alu instid0(VALU_DEP_2)
	v_add_co_ci_u32_e32 v4, vcc_lo, s13, v4, vcc_lo
	global_load_u16 v3, v[3:4], off
	s_waitcnt vmcnt(0)
	v_cvt_f32_f16_e32 v21, v3
.LBB39_37:
	v_cmp_ne_u32_e32 vcc_lo, 1, v16
	s_cbranch_vccnz .LBB39_39
; %bb.38:
	v_add_nc_u32_e32 v3, 3, v13
	v_add_nc_u32_e32 v11, 3, v11
	s_cbranch_execz .LBB39_40
	s_branch .LBB39_41
.LBB39_39:
                                        ; implicit-def: $vgpr3
	v_add_nc_u32_e32 v11, 3, v11
.LBB39_40:
	s_delay_alu instid0(VALU_DEP_1)
	v_mad_u64_u32 v[3:4], null, v11, s2, v[2:3]
.LBB39_41:
	v_cmp_ne_u32_e32 vcc_lo, 1, v17
	s_cbranch_vccnz .LBB39_43
; %bb.42:
	s_delay_alu instid0(VALU_DEP_2)
	v_mad_u64_u32 v[4:5], null, v11, s3, v[2:3]
	s_cbranch_execz .LBB39_44
	s_branch .LBB39_45
.LBB39_43:
                                        ; implicit-def: $vgpr4
.LBB39_44:
	v_add_nc_u32_e32 v4, 3, v12
.LBB39_45:
	v_cmp_ne_u32_e32 vcc_lo, 1, v18
	v_mov_b32_e32 v5, 0
	v_mov_b32_e32 v11, 0
	s_cbranch_vccnz .LBB39_47
; %bb.46:
	v_dual_mov_b32 v12, 0 :: v_dual_add_nc_u32 v11, s24, v3
	s_delay_alu instid0(VALU_DEP_1) | instskip(NEXT) | instid1(VALU_DEP_1)
	v_lshlrev_b64 v[11:12], 1, v[11:12]
	v_add_co_u32 v11, vcc_lo, s6, v11
	s_delay_alu instid0(VALU_DEP_2)
	v_add_co_ci_u32_e32 v12, vcc_lo, s7, v12, vcc_lo
	global_load_u16 v3, v[11:12], off
	s_waitcnt vmcnt(0)
	v_cvt_f32_f16_e32 v11, v3
.LBB39_47:
	v_cmp_ne_u32_e32 vcc_lo, 1, v19
	s_cbranch_vccnz .LBB39_49
; %bb.48:
	v_dual_mov_b32 v4, 0 :: v_dual_add_nc_u32 v3, s24, v4
	s_delay_alu instid0(VALU_DEP_1) | instskip(NEXT) | instid1(VALU_DEP_1)
	v_lshlrev_b64 v[3:4], 1, v[3:4]
	v_add_co_u32 v3, vcc_lo, s12, v3
	s_delay_alu instid0(VALU_DEP_2)
	v_add_co_ci_u32_e32 v4, vcc_lo, s13, v4, vcc_lo
	global_load_u16 v3, v[3:4], off
	s_waitcnt vmcnt(0)
	v_cvt_f32_f16_e32 v5, v3
.LBB39_49:
	v_dual_mul_f32 v3, s16, v10 :: v_dual_mul_f32 v10, s16, v15
	v_mul_f32_e32 v12, s16, v21
	s_delay_alu instid0(VALU_DEP_3) | instskip(SKIP_1) | instid1(VALU_DEP_3)
	v_mul_f32_e32 v13, s16, v5
	s_mov_b32 s0, exec_lo
	v_fma_mixlo_f16 v4, s15, v9, v3
	v_fma_mixlo_f16 v5, s15, v14, v10
	;; [unrolled: 1-line block ×4, first 2 shown]
	v_cmpx_ge_u32_e64 s1, v8
	s_xor_b32 s0, exec_lo, s0
	s_cbranch_execz .LBB39_51
; %bb.50:
	v_mul_lo_u32 v2, v2, s8
                                        ; implicit-def: $vgpr8
	s_delay_alu instid0(VALU_DEP_1) | instskip(NEXT) | instid1(VALU_DEP_1)
	v_add3_u32 v2, v1, s24, v2
	v_sub_nc_u32_e32 v0, v2, v0
	s_delay_alu instid0(VALU_DEP_1) | instskip(NEXT) | instid1(VALU_DEP_1)
	v_dual_mov_b32 v1, 0 :: v_dual_add_nc_u32 v6, 1, v0
	v_dual_mov_b32 v7, v1 :: v_dual_add_nc_u32 v10, 2, v0
	v_lshlrev_b64 v[12:13], 1, v[0:1]
	v_dual_mov_b32 v11, v1 :: v_dual_add_nc_u32 v0, 3, v0
	s_delay_alu instid0(VALU_DEP_3) | instskip(NEXT) | instid1(VALU_DEP_2)
	v_lshlrev_b64 v[6:7], 1, v[6:7]
	v_lshlrev_b64 v[10:11], 1, v[10:11]
	s_delay_alu instid0(VALU_DEP_4)
	v_add_co_u32 v12, vcc_lo, s4, v12
	v_add_co_ci_u32_e32 v13, vcc_lo, s5, v13, vcc_lo
	v_lshlrev_b64 v[0:1], 1, v[0:1]
	v_add_co_u32 v6, vcc_lo, s4, v6
	v_add_co_ci_u32_e32 v7, vcc_lo, s5, v7, vcc_lo
	v_add_co_u32 v10, vcc_lo, s4, v10
	v_add_co_ci_u32_e32 v11, vcc_lo, s5, v11, vcc_lo
	;; [unrolled: 2-line block ×3, first 2 shown]
	s_clause 0x3
	global_store_b16 v[12:13], v4, off
	global_store_b16 v[6:7], v5, off
	;; [unrolled: 1-line block ×4, first 2 shown]
                                        ; implicit-def: $vgpr6
                                        ; implicit-def: $vgpr7
                                        ; implicit-def: $vgpr1
                                        ; implicit-def: $vgpr0
                                        ; implicit-def: $vgpr4
                                        ; implicit-def: $vgpr5
                                        ; implicit-def: $vgpr9
                                        ; implicit-def: $vgpr3
.LBB39_51:
	s_and_not1_saveexec_b32 s0, s0
	s_cbranch_execz .LBB39_55
; %bb.52:
	v_cmp_gt_u32_e32 vcc_lo, 4, v0
	s_and_b32 exec_lo, exec_lo, vcc_lo
	s_cbranch_execz .LBB39_55
; %bb.53:
	v_lshl_or_b32 v2, s21, 4, v6
	s_lshl_b32 s0, s14, 4
	v_min_u32_e32 v6, s1, v8
	s_add_i32 s11, s11, s24
	v_perm_b32 v3, v3, v9, 0x5040100
	v_subrev_nc_u32_e32 v2, s0, v2
	s_mov_b32 s2, 0
	v_sub_nc_u32_e32 v6, v1, v6
	v_mov_b32_e32 v1, 0
	s_delay_alu instid0(VALU_DEP_3) | instskip(NEXT) | instid1(VALU_DEP_3)
	v_mul_lo_u32 v2, s8, v2
	v_add_nc_u32_e32 v6, 3, v6
	s_delay_alu instid0(VALU_DEP_2) | instskip(SKIP_2) | instid1(VALU_DEP_3)
	v_add3_u32 v7, s11, v2, v7
	v_perm_b32 v2, v5, v4, 0x5040100
	v_dual_mov_b32 v5, v1 :: v_dual_mov_b32 v4, v0
	v_mov_b32_e32 v0, v7
	.p2align	6
.LBB39_54:                              ; =>This Inner Loop Header: Depth=1
	s_delay_alu instid0(VALU_DEP_1) | instskip(SKIP_1) | instid1(VALU_DEP_4)
	v_lshlrev_b64 v[7:8], 1, v[0:1]
	v_add_nc_u32_e32 v6, 1, v6
	v_lshlrev_b32_e32 v9, 4, v4
	v_add_co_u32 v4, vcc_lo, v4, 1
	v_add_nc_u32_e32 v0, 1, v0
	s_delay_alu instid0(VALU_DEP_4)
	v_cmp_lt_u32_e64 s0, 2, v6
	v_add_co_u32 v7, s1, s4, v7
	v_lshrrev_b64 v[9:10], v9, v[2:3]
	v_add_co_ci_u32_e64 v8, s1, s5, v8, s1
	v_add_co_ci_u32_e32 v5, vcc_lo, 0, v5, vcc_lo
	s_or_b32 s2, s0, s2
	global_store_b16 v[7:8], v9, off
	s_and_not1_b32 exec_lo, exec_lo, s2
	s_cbranch_execnz .LBB39_54
.LBB39_55:
	s_endpgm
	.section	.rodata,"a",@progbits
	.p2align	6, 0x0
	.amdhsa_kernel Transform_H_S_101_16_16_VW_4
		.amdhsa_group_segment_fixed_size 0
		.amdhsa_private_segment_fixed_size 64
		.amdhsa_kernarg_size 344
		.amdhsa_user_sgpr_count 14
		.amdhsa_user_sgpr_dispatch_ptr 0
		.amdhsa_user_sgpr_queue_ptr 0
		.amdhsa_user_sgpr_kernarg_segment_ptr 1
		.amdhsa_user_sgpr_dispatch_id 0
		.amdhsa_user_sgpr_private_segment_size 0
		.amdhsa_wavefront_size32 1
		.amdhsa_uses_dynamic_stack 0
		.amdhsa_enable_private_segment 1
		.amdhsa_system_sgpr_workgroup_id_x 1
		.amdhsa_system_sgpr_workgroup_id_y 0
		.amdhsa_system_sgpr_workgroup_id_z 1
		.amdhsa_system_sgpr_workgroup_info 0
		.amdhsa_system_vgpr_workitem_id 0
		.amdhsa_next_free_vgpr 42
		.amdhsa_next_free_sgpr 34
		.amdhsa_reserve_vcc 1
		.amdhsa_float_round_mode_32 0
		.amdhsa_float_round_mode_16_64 0
		.amdhsa_float_denorm_mode_32 3
		.amdhsa_float_denorm_mode_16_64 3
		.amdhsa_dx10_clamp 1
		.amdhsa_ieee_mode 1
		.amdhsa_fp16_overflow 0
		.amdhsa_workgroup_processor_mode 1
		.amdhsa_memory_ordered 1
		.amdhsa_forward_progress 0
		.amdhsa_shared_vgpr_count 0
		.amdhsa_exception_fp_ieee_invalid_op 0
		.amdhsa_exception_fp_denorm_src 0
		.amdhsa_exception_fp_ieee_div_zero 0
		.amdhsa_exception_fp_ieee_overflow 0
		.amdhsa_exception_fp_ieee_underflow 0
		.amdhsa_exception_fp_ieee_inexact 0
		.amdhsa_exception_int_div_zero 0
	.end_amdhsa_kernel
	.text
.Lfunc_end39:
	.size	Transform_H_S_101_16_16_VW_4, .Lfunc_end39-Transform_H_S_101_16_16_VW_4
                                        ; -- End function
	.section	.AMDGPU.csdata,"",@progbits
; Kernel info:
; codeLenInByte = 1860
; NumSgprs: 36
; NumVgprs: 42
; ScratchSize: 64
; MemoryBound: 0
; FloatMode: 240
; IeeeMode: 1
; LDSByteSize: 0 bytes/workgroup (compile time only)
; SGPRBlocks: 4
; VGPRBlocks: 5
; NumSGPRsForWavesPerEU: 36
; NumVGPRsForWavesPerEU: 42
; Occupancy: 16
; WaveLimiterHint : 1
; COMPUTE_PGM_RSRC2:SCRATCH_EN: 1
; COMPUTE_PGM_RSRC2:USER_SGPR: 14
; COMPUTE_PGM_RSRC2:TRAP_HANDLER: 0
; COMPUTE_PGM_RSRC2:TGID_X_EN: 1
; COMPUTE_PGM_RSRC2:TGID_Y_EN: 0
; COMPUTE_PGM_RSRC2:TGID_Z_EN: 1
; COMPUTE_PGM_RSRC2:TIDIG_COMP_CNT: 0
	.text
	.protected	Transform_H_S_100_16_16_VW_1 ; -- Begin function Transform_H_S_100_16_16_VW_1
	.globl	Transform_H_S_100_16_16_VW_1
	.p2align	8
	.type	Transform_H_S_100_16_16_VW_1,@function
Transform_H_S_100_16_16_VW_1:           ; @Transform_H_S_100_16_16_VW_1
; %bb.0:
	s_mov_b64 s[22:23], s[0:1]
	s_load_b32 s0, s[0:1], 0x64
	v_mov_b32_e32 v41, v0
	s_mov_b32 s21, s15
	s_mov_b32 s24, s14
	;; [unrolled: 1-line block ×3, first 2 shown]
	s_waitcnt lgkmcnt(0)
	v_cmp_eq_u16_e64 s0, 0x100, s0
	s_delay_alu instid0(VALU_DEP_1)
	s_and_b32 vcc_lo, exec_lo, s0
	s_mov_b32 s0, -1
	s_cbranch_vccnz .LBB40_2
; %bb.1:
	s_add_u32 s8, s22, 0x58
	s_addc_u32 s9, s23, 0
	s_getpc_b64 s[0:1]
	s_add_u32 s0, s0, __PRETTY_FUNCTION__._ZN10amd_detail9transformIDF16_fLb1ELb0ELb0ELj16ELj16ELj1EEEvPT_PKS1_S4_T0_PKS5_S5_S7_jjjjjjbb@rel32@lo+4
	s_addc_u32 s1, s1, __PRETTY_FUNCTION__._ZN10amd_detail9transformIDF16_fLb1ELb0ELb0ELj16ELj16ELj1EEEvPT_PKS1_S4_T0_PKS5_S5_S7_jjjjjjbb@rel32@hi+12
	s_delay_alu instid0(SALU_CYCLE_1) | instskip(SKIP_3) | instid1(SALU_CYCLE_1)
	v_dual_mov_b32 v0, s0 :: v_dual_mov_b32 v1, s1
	s_getpc_b64 s[2:3]
	s_add_u32 s2, s2, __assert_fail@rel32@lo+4
	s_addc_u32 s3, s3, __assert_fail@rel32@hi+12
	s_swappc_b64 s[30:31], s[2:3]
	; divergent unreachable
	s_mov_b32 s0, 0
.LBB40_2:
	s_delay_alu instid0(SALU_CYCLE_1)
	s_and_not1_b32 vcc_lo, exec_lo, s0
	s_cbranch_vccnz .LBB40_14
; %bb.3:
	s_load_b256 s[0:7], s[22:23], 0x38
	s_waitcnt lgkmcnt(0)
	s_and_b32 s7, s0, 15
	s_lshr_b32 s8, s0, 4
	s_cmp_lg_u32 s7, 0
	s_cselect_b32 s7, -1, 0
	s_delay_alu instid0(SALU_CYCLE_1) | instskip(SKIP_4) | instid1(VALU_DEP_1)
	s_cmp_lg_u32 s7, 0
	s_addc_u32 s10, s8, 0
	s_load_b64 s[8:9], s[22:23], 0x20
	v_cvt_f32_u32_e32 v0, s10
	s_sub_i32 s11, 0, s10
	v_rcp_iflag_f32_e32 v0, v0
	s_waitcnt_depctr 0xfff
	v_mul_f32_e32 v0, 0x4f7ffffe, v0
	s_delay_alu instid0(VALU_DEP_1) | instskip(NEXT) | instid1(VALU_DEP_1)
	v_cvt_u32_f32_e32 v0, v0
	v_readfirstlane_b32 s7, v0
	s_delay_alu instid0(VALU_DEP_1) | instskip(NEXT) | instid1(SALU_CYCLE_1)
	s_mul_i32 s11, s11, s7
	s_mul_hi_u32 s11, s7, s11
	s_delay_alu instid0(SALU_CYCLE_1)
	s_add_i32 s7, s7, s11
	s_waitcnt lgkmcnt(0)
	s_cmp_eq_u64 s[8:9], 0
	s_mul_hi_u32 s11, s24, s7
	s_cbranch_scc1 .LBB40_6
; %bb.4:
	s_load_b32 s7, s[8:9], 0x0
	s_load_b64 s[8:9], s[22:23], 0x30
	s_waitcnt lgkmcnt(0)
	s_cmp_eq_u64 s[8:9], 0
	s_cbranch_scc1 .LBB40_7
.LBB40_5:
	s_load_b32 s12, s[8:9], 0x0
	s_branch .LBB40_8
.LBB40_6:
	s_clause 0x1
	s_load_b32 s7, s[22:23], 0x18
	s_load_b64 s[8:9], s[22:23], 0x30
	s_waitcnt lgkmcnt(0)
	s_cmp_eq_u64 s[8:9], 0
	s_cbranch_scc0 .LBB40_5
.LBB40_7:
	s_load_b32 s12, s[22:23], 0x28
.LBB40_8:
	s_mul_i32 s8, s11, s10
	s_add_i32 s9, s11, 1
	s_sub_i32 s8, s24, s8
	v_and_b32_e32 v0, 15, v41
	s_sub_i32 s13, s8, s10
	s_cmp_ge_u32 s8, s10
	v_lshrrev_b32_e32 v1, 4, v41
	s_cselect_b32 s9, s9, s11
	s_cselect_b32 s8, s13, s8
	s_add_i32 s11, s9, 1
	s_cmp_ge_u32 s8, s10
	s_cselect_b32 s8, s11, s9
	s_delay_alu instid0(SALU_CYCLE_1) | instskip(SKIP_2) | instid1(SALU_CYCLE_1)
	s_mul_i32 s9, s8, s10
	v_lshl_add_u32 v1, s8, 4, v1
	s_sub_i32 s9, s24, s9
	v_lshl_or_b32 v0, s9, 4, v0
	s_delay_alu instid0(VALU_DEP_1) | instskip(NEXT) | instid1(VALU_DEP_3)
	v_cmp_gt_u32_e32 vcc_lo, s0, v0
	v_cmp_gt_u32_e64 s0, s1, v1
	s_delay_alu instid0(VALU_DEP_1) | instskip(NEXT) | instid1(SALU_CYCLE_1)
	s_and_b32 s0, vcc_lo, s0
	s_and_saveexec_b32 s1, s0
	s_cbranch_execz .LBB40_14
; %bb.9:
	s_clause 0x1
	s_load_b128 s[8:11], s[22:23], 0x0
	s_load_b64 s[0:1], s[22:23], 0x10
	v_dual_mov_b32 v3, 0 :: v_dual_mov_b32 v2, 0
	s_mul_i32 s21, s21, s5
	s_waitcnt lgkmcnt(0)
	s_cmp_eq_u64 s[10:11], 0
	s_cbranch_scc1 .LBB40_11
; %bb.10:
	s_bitcmp1_b32 s6, 0
	v_mov_b32_e32 v5, 0
	s_cselect_b32 vcc_lo, -1, 0
	v_cndmask_b32_e32 v2, v0, v1, vcc_lo
	v_cndmask_b32_e32 v4, v1, v0, vcc_lo
	s_delay_alu instid0(VALU_DEP_2) | instskip(NEXT) | instid1(VALU_DEP_1)
	v_mul_lo_u32 v2, v2, s2
	v_add3_u32 v4, v4, s21, v2
	s_delay_alu instid0(VALU_DEP_1) | instskip(NEXT) | instid1(VALU_DEP_1)
	v_lshlrev_b64 v[4:5], 1, v[4:5]
	v_add_co_u32 v4, vcc_lo, s10, v4
	s_delay_alu instid0(VALU_DEP_2)
	v_add_co_ci_u32_e32 v5, vcc_lo, s11, v5, vcc_lo
	global_load_u16 v2, v[4:5], off
	s_waitcnt vmcnt(0)
	v_cvt_f32_f16_e32 v2, v2
.LBB40_11:
	s_cmp_eq_u64 s[0:1], 0
	s_cbranch_scc1 .LBB40_13
; %bb.12:
	s_load_b32 s2, s[22:23], 0x50
	v_mov_b32_e32 v4, 0
	s_waitcnt lgkmcnt(0)
	s_bitcmp1_b32 s2, 8
	s_cselect_b32 vcc_lo, -1, 0
	v_cndmask_b32_e32 v3, v1, v0, vcc_lo
	v_cndmask_b32_e32 v5, v0, v1, vcc_lo
	s_delay_alu instid0(VALU_DEP_2) | instskip(NEXT) | instid1(VALU_DEP_1)
	v_mul_lo_u32 v3, v3, s3
	v_add3_u32 v3, v5, s21, v3
	s_delay_alu instid0(VALU_DEP_1) | instskip(NEXT) | instid1(VALU_DEP_1)
	v_lshlrev_b64 v[3:4], 1, v[3:4]
	v_add_co_u32 v3, vcc_lo, s0, v3
	s_delay_alu instid0(VALU_DEP_2)
	v_add_co_ci_u32_e32 v4, vcc_lo, s1, v4, vcc_lo
	global_load_u16 v3, v[3:4], off
	s_waitcnt vmcnt(0)
	v_cvt_f32_f16_e32 v3, v3
.LBB40_13:
	v_mul_lo_u32 v4, v1, s4
	v_mov_b32_e32 v1, 0
	s_delay_alu instid0(VALU_DEP_3) | instskip(NEXT) | instid1(VALU_DEP_1)
	v_mul_f32_e32 v3, s12, v3
	v_fma_mixlo_f16 v2, s7, v2, v3
	s_delay_alu instid0(VALU_DEP_4) | instskip(NEXT) | instid1(VALU_DEP_1)
	v_add3_u32 v0, v0, s21, v4
	v_lshlrev_b64 v[0:1], 1, v[0:1]
	s_delay_alu instid0(VALU_DEP_1) | instskip(NEXT) | instid1(VALU_DEP_2)
	v_add_co_u32 v0, vcc_lo, s8, v0
	v_add_co_ci_u32_e32 v1, vcc_lo, s9, v1, vcc_lo
	global_store_b16 v[0:1], v2, off
.LBB40_14:
	s_endpgm
	.section	.rodata,"a",@progbits
	.p2align	6, 0x0
	.amdhsa_kernel Transform_H_S_100_16_16_VW_1
		.amdhsa_group_segment_fixed_size 0
		.amdhsa_private_segment_fixed_size 64
		.amdhsa_kernarg_size 344
		.amdhsa_user_sgpr_count 14
		.amdhsa_user_sgpr_dispatch_ptr 0
		.amdhsa_user_sgpr_queue_ptr 0
		.amdhsa_user_sgpr_kernarg_segment_ptr 1
		.amdhsa_user_sgpr_dispatch_id 0
		.amdhsa_user_sgpr_private_segment_size 0
		.amdhsa_wavefront_size32 1
		.amdhsa_uses_dynamic_stack 0
		.amdhsa_enable_private_segment 1
		.amdhsa_system_sgpr_workgroup_id_x 1
		.amdhsa_system_sgpr_workgroup_id_y 0
		.amdhsa_system_sgpr_workgroup_id_z 1
		.amdhsa_system_sgpr_workgroup_info 0
		.amdhsa_system_vgpr_workitem_id 0
		.amdhsa_next_free_vgpr 42
		.amdhsa_next_free_sgpr 34
		.amdhsa_reserve_vcc 1
		.amdhsa_float_round_mode_32 0
		.amdhsa_float_round_mode_16_64 0
		.amdhsa_float_denorm_mode_32 3
		.amdhsa_float_denorm_mode_16_64 3
		.amdhsa_dx10_clamp 1
		.amdhsa_ieee_mode 1
		.amdhsa_fp16_overflow 0
		.amdhsa_workgroup_processor_mode 1
		.amdhsa_memory_ordered 1
		.amdhsa_forward_progress 0
		.amdhsa_shared_vgpr_count 0
		.amdhsa_exception_fp_ieee_invalid_op 0
		.amdhsa_exception_fp_denorm_src 0
		.amdhsa_exception_fp_ieee_div_zero 0
		.amdhsa_exception_fp_ieee_overflow 0
		.amdhsa_exception_fp_ieee_underflow 0
		.amdhsa_exception_fp_ieee_inexact 0
		.amdhsa_exception_int_div_zero 0
	.end_amdhsa_kernel
	.text
.Lfunc_end40:
	.size	Transform_H_S_100_16_16_VW_1, .Lfunc_end40-Transform_H_S_100_16_16_VW_1
                                        ; -- End function
	.section	.AMDGPU.csdata,"",@progbits
; Kernel info:
; codeLenInByte = 760
; NumSgprs: 36
; NumVgprs: 42
; ScratchSize: 64
; MemoryBound: 0
; FloatMode: 240
; IeeeMode: 1
; LDSByteSize: 0 bytes/workgroup (compile time only)
; SGPRBlocks: 4
; VGPRBlocks: 5
; NumSGPRsForWavesPerEU: 36
; NumVGPRsForWavesPerEU: 42
; Occupancy: 16
; WaveLimiterHint : 1
; COMPUTE_PGM_RSRC2:SCRATCH_EN: 1
; COMPUTE_PGM_RSRC2:USER_SGPR: 14
; COMPUTE_PGM_RSRC2:TRAP_HANDLER: 0
; COMPUTE_PGM_RSRC2:TGID_X_EN: 1
; COMPUTE_PGM_RSRC2:TGID_Y_EN: 0
; COMPUTE_PGM_RSRC2:TGID_Z_EN: 1
; COMPUTE_PGM_RSRC2:TIDIG_COMP_CNT: 0
	.text
	.protected	Transform_H_S_100_16_16_VW_4 ; -- Begin function Transform_H_S_100_16_16_VW_4
	.globl	Transform_H_S_100_16_16_VW_4
	.p2align	8
	.type	Transform_H_S_100_16_16_VW_4,@function
Transform_H_S_100_16_16_VW_4:           ; @Transform_H_S_100_16_16_VW_4
; %bb.0:
	s_mov_b64 s[22:23], s[0:1]
	s_load_b32 s0, s[0:1], 0x64
	v_mov_b32_e32 v41, v0
	s_mov_b32 s24, s15
	s_mov_b32 s21, s14
	;; [unrolled: 1-line block ×3, first 2 shown]
	s_waitcnt lgkmcnt(0)
	v_cmp_eq_u16_e64 s0, 0x100, s0
	s_delay_alu instid0(VALU_DEP_1)
	s_and_b32 vcc_lo, exec_lo, s0
	s_mov_b32 s0, -1
	s_cbranch_vccnz .LBB41_2
; %bb.1:
	s_add_u32 s8, s22, 0x58
	s_addc_u32 s9, s23, 0
	s_getpc_b64 s[0:1]
	s_add_u32 s0, s0, __PRETTY_FUNCTION__._ZN10amd_detail9transformIDF16_fLb1ELb0ELb0ELj16ELj16ELj4EEEvPT_PKS1_S4_T0_PKS5_S5_S7_jjjjjjbb@rel32@lo+4
	s_addc_u32 s1, s1, __PRETTY_FUNCTION__._ZN10amd_detail9transformIDF16_fLb1ELb0ELb0ELj16ELj16ELj4EEEvPT_PKS1_S4_T0_PKS5_S5_S7_jjjjjjbb@rel32@hi+12
	s_delay_alu instid0(SALU_CYCLE_1) | instskip(SKIP_3) | instid1(SALU_CYCLE_1)
	v_dual_mov_b32 v0, s0 :: v_dual_mov_b32 v1, s1
	s_getpc_b64 s[2:3]
	s_add_u32 s2, s2, __assert_fail@rel32@lo+4
	s_addc_u32 s3, s3, __assert_fail@rel32@hi+12
	s_swappc_b64 s[30:31], s[2:3]
	; divergent unreachable
	s_mov_b32 s0, 0
.LBB41_2:
	s_delay_alu instid0(SALU_CYCLE_1)
	s_and_not1_b32 vcc_lo, exec_lo, s0
	s_cbranch_vccnz .LBB41_55
; %bb.3:
	s_load_b256 s[4:11], s[22:23], 0x38
	s_waitcnt lgkmcnt(0)
	s_and_b32 s0, s4, 63
	s_lshr_b32 s1, s4, 6
	s_cmp_lg_u32 s0, 0
	s_cselect_b32 s0, -1, 0
	s_delay_alu instid0(SALU_CYCLE_1) | instskip(SKIP_4) | instid1(VALU_DEP_1)
	s_cmp_lg_u32 s0, 0
	s_addc_u32 s2, s1, 0
	s_load_b64 s[0:1], s[22:23], 0x20
	v_cvt_f32_u32_e32 v0, s2
	s_sub_i32 s11, 0, s2
	v_rcp_iflag_f32_e32 v0, v0
	s_waitcnt_depctr 0xfff
	v_mul_f32_e32 v0, 0x4f7ffffe, v0
	s_delay_alu instid0(VALU_DEP_1) | instskip(NEXT) | instid1(VALU_DEP_1)
	v_cvt_u32_f32_e32 v0, v0
	v_readfirstlane_b32 s3, v0
	s_delay_alu instid0(VALU_DEP_1) | instskip(NEXT) | instid1(SALU_CYCLE_1)
	s_mul_i32 s11, s11, s3
	s_mul_hi_u32 s11, s3, s11
	s_delay_alu instid0(SALU_CYCLE_1)
	s_add_i32 s3, s3, s11
	s_waitcnt lgkmcnt(0)
	s_cmp_eq_u64 s[0:1], 0
	s_mul_hi_u32 s3, s21, s3
	s_cbranch_scc1 .LBB41_6
; %bb.4:
	s_load_b32 s11, s[0:1], 0x0
	s_load_b64 s[0:1], s[22:23], 0x30
	s_waitcnt lgkmcnt(0)
	s_cmp_eq_u64 s[0:1], 0
	s_cbranch_scc1 .LBB41_7
.LBB41_5:
	s_load_b32 s16, s[0:1], 0x0
	s_branch .LBB41_8
.LBB41_6:
	s_clause 0x1
	s_load_b32 s11, s[22:23], 0x18
	s_load_b64 s[0:1], s[22:23], 0x30
	s_waitcnt lgkmcnt(0)
	s_cmp_eq_u64 s[0:1], 0
	s_cbranch_scc0 .LBB41_5
.LBB41_7:
	s_load_b32 s16, s[22:23], 0x28
.LBB41_8:
	s_mul_i32 s0, s3, s2
	s_add_i32 s1, s3, 1
	s_sub_i32 s0, s21, s0
	v_lshrrev_b32_e32 v0, 4, v41
	s_sub_i32 s12, s0, s2
	s_cmp_ge_u32 s0, s2
	s_cselect_b32 s1, s1, s3
	s_cselect_b32 s0, s12, s0
	s_add_i32 s3, s1, 1
	s_cmp_ge_u32 s0, s2
	s_mov_b32 s0, exec_lo
	s_cselect_b32 s1, s3, s1
	s_delay_alu instid0(SALU_CYCLE_1) | instskip(NEXT) | instid1(VALU_DEP_1)
	v_lshl_add_u32 v0, s1, 4, v0
	v_cmpx_gt_u32_e64 s5, v0
	s_cbranch_execz .LBB41_55
; %bb.9:
	v_dual_mov_b32 v12, 0 :: v_dual_lshlrev_b32 v1, 2, v41
	s_mul_i32 s1, s1, s2
	s_clause 0x1
	s_load_b128 s[12:15], s[22:23], 0x0
	s_load_b64 s[2:3], s[22:23], 0x10
	v_and_b32_e32 v7, 60, v1
	s_sub_i32 s0, s21, s1
	s_bitcmp1_b32 s10, 0
	s_mul_i32 s24, s24, s9
	s_cselect_b32 vcc_lo, -1, 0
	v_lshl_or_b32 v9, s0, 6, v7
	s_delay_alu instid0(VALU_DEP_1) | instskip(NEXT) | instid1(VALU_DEP_1)
	v_dual_mov_b32 v11, 0 :: v_dual_add_nc_u32 v10, 4, v9
	v_sub_nc_u32_e64 v8, v10, s4 clamp
	s_waitcnt lgkmcnt(0)
	s_cmp_lg_u64 s[14:15], 0
	s_cselect_b32 s5, -1, 0
	s_delay_alu instid0(VALU_DEP_1) | instskip(SKIP_1) | instid1(VALU_DEP_1)
	v_sub_nc_u32_e32 v3, v9, v8
	s_cmp_eq_u64 s[14:15], 0
	v_mad_u64_u32 v[1:2], null, v0, s6, v[3:4]
	s_cbranch_scc1 .LBB41_11
; %bb.10:
	s_delay_alu instid0(VALU_DEP_1) | instskip(NEXT) | instid1(VALU_DEP_1)
	v_mad_u64_u32 v[4:5], null, v3, s6, v[0:1]
	v_dual_mov_b32 v5, 0 :: v_dual_cndmask_b32 v2, v4, v1
	s_delay_alu instid0(VALU_DEP_1) | instskip(NEXT) | instid1(VALU_DEP_1)
	v_add_nc_u32_e32 v4, s24, v2
	v_lshlrev_b64 v[4:5], 1, v[4:5]
	s_delay_alu instid0(VALU_DEP_1) | instskip(NEXT) | instid1(VALU_DEP_1)
	v_add_co_u32 v4, s0, s14, v4
	v_add_co_ci_u32_e64 v5, s0, s15, v5, s0
	global_load_u16 v2, v[4:5], off
	s_waitcnt vmcnt(0)
	v_cvt_f32_f16_e32 v11, v2
.LBB41_11:
	s_load_b32 s0, s[22:23], 0x50
	v_mad_u64_u32 v[4:5], null, v0, s7, v[3:4]
	v_mul_lo_u32 v13, v3, s7
	s_xor_b32 s10, vcc_lo, -1
	s_waitcnt lgkmcnt(0)
	s_bitcmp1_b32 s0, 8
	s_cselect_b32 s0, -1, 0
	s_cmp_lg_u64 s[2:3], 0
	s_cselect_b32 s9, -1, 0
	s_cmp_eq_u64 s[2:3], 0
	s_cbranch_scc1 .LBB41_13
; %bb.12:
	v_add_nc_u32_e32 v2, v13, v0
	s_delay_alu instid0(VALU_DEP_1) | instskip(NEXT) | instid1(VALU_DEP_1)
	v_cndmask_b32_e64 v2, v4, v2, s0
	v_dual_mov_b32 v6, 0 :: v_dual_add_nc_u32 v5, s24, v2
	s_delay_alu instid0(VALU_DEP_1) | instskip(NEXT) | instid1(VALU_DEP_1)
	v_lshlrev_b64 v[5:6], 1, v[5:6]
	v_add_co_u32 v5, vcc_lo, s2, v5
	s_delay_alu instid0(VALU_DEP_2)
	v_add_co_ci_u32_e32 v6, vcc_lo, s3, v6, vcc_lo
	global_load_u16 v2, v[5:6], off
	s_waitcnt vmcnt(0)
	v_cvt_f32_f16_e32 v12, v2
.LBB41_13:
	v_cndmask_b32_e64 v2, 0, 1, s10
	s_and_not1_b32 vcc_lo, exec_lo, s10
	s_cbranch_vccnz .LBB41_15
; %bb.14:
	v_mul_lo_u32 v5, s6, v3
	s_delay_alu instid0(VALU_DEP_1)
	v_add3_u32 v5, v5, s6, v0
	s_xor_b32 s0, s0, -1
	s_cbranch_execz .LBB41_16
	s_branch .LBB41_17
.LBB41_15:
                                        ; implicit-def: $vgpr5
	s_xor_b32 s0, s0, -1
.LBB41_16:
	v_add_nc_u32_e32 v5, 1, v1
.LBB41_17:
	v_cndmask_b32_e64 v16, 0, 1, s0
	s_and_not1_b32 vcc_lo, exec_lo, s0
	s_cbranch_vccnz .LBB41_19
; %bb.18:
	v_add_nc_u32_e32 v6, 1, v4
	s_cbranch_execz .LBB41_20
	s_branch .LBB41_21
.LBB41_19:
                                        ; implicit-def: $vgpr6
.LBB41_20:
	v_add3_u32 v6, v13, s7, v0
.LBB41_21:
	v_cndmask_b32_e64 v17, 0, 1, s5
	v_dual_mov_b32 v15, 0 :: v_dual_mov_b32 v14, 0
	s_and_not1_b32 vcc_lo, exec_lo, s5
	s_cbranch_vccnz .LBB41_23
; %bb.22:
	v_dual_mov_b32 v19, 0 :: v_dual_add_nc_u32 v18, s24, v5
	s_delay_alu instid0(VALU_DEP_1) | instskip(NEXT) | instid1(VALU_DEP_1)
	v_lshlrev_b64 v[18:19], 1, v[18:19]
	v_add_co_u32 v18, vcc_lo, s14, v18
	s_delay_alu instid0(VALU_DEP_2)
	v_add_co_ci_u32_e32 v19, vcc_lo, s15, v19, vcc_lo
	global_load_u16 v5, v[18:19], off
	s_waitcnt vmcnt(0)
	v_cvt_f32_f16_e32 v14, v5
.LBB41_23:
	v_cndmask_b32_e64 v18, 0, 1, s9
	s_and_not1_b32 vcc_lo, exec_lo, s9
	s_cbranch_vccnz .LBB41_25
; %bb.24:
	v_dual_mov_b32 v6, 0 :: v_dual_add_nc_u32 v5, s24, v6
	s_delay_alu instid0(VALU_DEP_1) | instskip(NEXT) | instid1(VALU_DEP_1)
	v_lshlrev_b64 v[5:6], 1, v[5:6]
	v_add_co_u32 v5, vcc_lo, s2, v5
	s_delay_alu instid0(VALU_DEP_2)
	v_add_co_ci_u32_e32 v6, vcc_lo, s3, v6, vcc_lo
	global_load_u16 v5, v[5:6], off
	s_waitcnt vmcnt(0)
	v_cvt_f32_f16_e32 v15, v5
.LBB41_25:
	v_cmp_ne_u32_e32 vcc_lo, 1, v2
	s_cbranch_vccnz .LBB41_27
; %bb.26:
	v_add_nc_u32_e32 v19, 2, v3
	s_delay_alu instid0(VALU_DEP_1)
	v_mad_u64_u32 v[5:6], null, v19, s6, v[0:1]
	s_cbranch_execz .LBB41_28
	s_branch .LBB41_29
.LBB41_27:
                                        ; implicit-def: $vgpr5
.LBB41_28:
	v_add_nc_u32_e32 v5, 2, v1
.LBB41_29:
	v_cmp_ne_u32_e32 vcc_lo, 1, v16
	s_cbranch_vccnz .LBB41_31
; %bb.30:
	v_add_nc_u32_e32 v20, 2, v4
	s_cbranch_execz .LBB41_32
	s_branch .LBB41_33
.LBB41_31:
                                        ; implicit-def: $vgpr20
.LBB41_32:
	s_lshl_b32 s0, s7, 1
	s_delay_alu instid0(SALU_CYCLE_1)
	v_add3_u32 v20, v13, s0, v0
.LBB41_33:
	v_cmp_ne_u32_e32 vcc_lo, 1, v17
	v_dual_mov_b32 v19, 0 :: v_dual_mov_b32 v6, 0
	s_cbranch_vccnz .LBB41_35
; %bb.34:
	v_dual_mov_b32 v6, 0 :: v_dual_add_nc_u32 v5, s24, v5
	s_delay_alu instid0(VALU_DEP_1) | instskip(NEXT) | instid1(VALU_DEP_1)
	v_lshlrev_b64 v[5:6], 1, v[5:6]
	v_add_co_u32 v5, vcc_lo, s14, v5
	s_delay_alu instid0(VALU_DEP_2)
	v_add_co_ci_u32_e32 v6, vcc_lo, s15, v6, vcc_lo
	global_load_u16 v5, v[5:6], off
	s_waitcnt vmcnt(0)
	v_cvt_f32_f16_e32 v6, v5
.LBB41_35:
	v_cmp_ne_u32_e32 vcc_lo, 1, v18
	s_cbranch_vccnz .LBB41_37
; %bb.36:
	v_dual_mov_b32 v20, 0 :: v_dual_add_nc_u32 v19, s24, v20
	s_delay_alu instid0(VALU_DEP_1) | instskip(NEXT) | instid1(VALU_DEP_1)
	v_lshlrev_b64 v[19:20], 1, v[19:20]
	v_add_co_u32 v19, vcc_lo, s2, v19
	s_delay_alu instid0(VALU_DEP_2)
	v_add_co_ci_u32_e32 v20, vcc_lo, s3, v20, vcc_lo
	global_load_u16 v5, v[19:20], off
	s_waitcnt vmcnt(0)
	v_cvt_f32_f16_e32 v19, v5
.LBB41_37:
	v_cmp_ne_u32_e32 vcc_lo, 1, v2
	s_cbranch_vccnz .LBB41_39
; %bb.38:
	v_add_nc_u32_e32 v5, 3, v3
	s_delay_alu instid0(VALU_DEP_1)
	v_mad_u64_u32 v[2:3], null, v5, s6, v[0:1]
	s_cbranch_execz .LBB41_40
	s_branch .LBB41_41
.LBB41_39:
                                        ; implicit-def: $vgpr2
.LBB41_40:
	v_add_nc_u32_e32 v2, 3, v1
.LBB41_41:
	v_cmp_ne_u32_e32 vcc_lo, 1, v16
	s_cbranch_vccnz .LBB41_43
; %bb.42:
	v_add_nc_u32_e32 v1, 3, v4
	s_cbranch_execz .LBB41_44
	s_branch .LBB41_45
.LBB41_43:
                                        ; implicit-def: $vgpr1
.LBB41_44:
	s_mul_i32 s0, s7, 3
	s_delay_alu instid0(SALU_CYCLE_1)
	v_add3_u32 v1, v13, s0, v0
.LBB41_45:
	v_cmp_ne_u32_e32 vcc_lo, 1, v17
	v_mov_b32_e32 v3, 0
	v_mov_b32_e32 v13, 0
	s_cbranch_vccnz .LBB41_47
; %bb.46:
	v_dual_mov_b32 v5, 0 :: v_dual_add_nc_u32 v4, s24, v2
	s_delay_alu instid0(VALU_DEP_1) | instskip(NEXT) | instid1(VALU_DEP_1)
	v_lshlrev_b64 v[4:5], 1, v[4:5]
	v_add_co_u32 v4, vcc_lo, s14, v4
	s_delay_alu instid0(VALU_DEP_2)
	v_add_co_ci_u32_e32 v5, vcc_lo, s15, v5, vcc_lo
	global_load_u16 v2, v[4:5], off
	s_waitcnt vmcnt(0)
	v_cvt_f32_f16_e32 v13, v2
.LBB41_47:
	v_cmp_ne_u32_e32 vcc_lo, 1, v18
	s_cbranch_vccnz .LBB41_49
; %bb.48:
	v_dual_mov_b32 v2, 0 :: v_dual_add_nc_u32 v1, s24, v1
	s_delay_alu instid0(VALU_DEP_1) | instskip(NEXT) | instid1(VALU_DEP_1)
	v_lshlrev_b64 v[1:2], 1, v[1:2]
	v_add_co_u32 v1, vcc_lo, s2, v1
	s_delay_alu instid0(VALU_DEP_2)
	v_add_co_ci_u32_e32 v2, vcc_lo, s3, v2, vcc_lo
	global_load_u16 v1, v[1:2], off
	s_waitcnt vmcnt(0)
	v_cvt_f32_f16_e32 v3, v1
.LBB41_49:
	v_dual_mul_f32 v1, s16, v12 :: v_dual_mul_f32 v2, s16, v15
	v_mul_f32_e32 v12, s16, v19
	s_delay_alu instid0(VALU_DEP_3) | instskip(SKIP_1) | instid1(VALU_DEP_4)
	v_mul_f32_e32 v15, s16, v3
	v_mul_lo_u32 v0, v0, s8
	v_fma_mixlo_f16 v5, s11, v11, v1
	v_fma_mixlo_f16 v4, s11, v14, v2
	;; [unrolled: 1-line block ×4, first 2 shown]
	s_mov_b32 s0, exec_lo
	v_cmpx_ge_u32_e64 s4, v10
	s_xor_b32 s0, exec_lo, s0
	s_cbranch_execz .LBB41_51
; %bb.50:
	v_add_nc_u32_e32 v1, s24, v9
	s_delay_alu instid0(VALU_DEP_1) | instskip(NEXT) | instid1(VALU_DEP_1)
	v_sub_nc_u32_e32 v6, v1, v8
	v_dual_mov_b32 v1, 0 :: v_dual_add_nc_u32 v0, v6, v0
	s_delay_alu instid0(VALU_DEP_1) | instskip(NEXT) | instid1(VALU_DEP_2)
	v_mov_b32_e32 v7, v1
	v_dual_mov_b32 v9, v1 :: v_dual_add_nc_u32 v8, 2, v0
	v_add_nc_u32_e32 v6, 1, v0
	v_lshlrev_b64 v[10:11], 1, v[0:1]
	v_add_nc_u32_e32 v0, 3, v0
	s_delay_alu instid0(VALU_DEP_4) | instskip(NEXT) | instid1(VALU_DEP_4)
	v_lshlrev_b64 v[8:9], 1, v[8:9]
	v_lshlrev_b64 v[6:7], 1, v[6:7]
	s_delay_alu instid0(VALU_DEP_4) | instskip(SKIP_2) | instid1(VALU_DEP_4)
	v_add_co_u32 v10, vcc_lo, s12, v10
	v_add_co_ci_u32_e32 v11, vcc_lo, s13, v11, vcc_lo
	v_lshlrev_b64 v[0:1], 1, v[0:1]
	v_add_co_u32 v6, vcc_lo, s12, v6
	v_add_co_ci_u32_e32 v7, vcc_lo, s13, v7, vcc_lo
	v_add_co_u32 v8, vcc_lo, s12, v8
	v_add_co_ci_u32_e32 v9, vcc_lo, s13, v9, vcc_lo
	;; [unrolled: 2-line block ×3, first 2 shown]
	s_clause 0x3
	global_store_b16 v[10:11], v5, off
	global_store_b16 v[6:7], v4, off
	global_store_b16 v[8:9], v3, off
	global_store_b16 v[0:1], v2, off
                                        ; implicit-def: $vgpr8
                                        ; implicit-def: $vgpr2
                                        ; implicit-def: $vgpr3
                                        ; implicit-def: $vgpr4
                                        ; implicit-def: $vgpr5
                                        ; implicit-def: $vgpr7
                                        ; implicit-def: $vgpr0
.LBB41_51:
	s_and_not1_saveexec_b32 s0, s0
	s_cbranch_execz .LBB41_55
; %bb.52:
	v_cmp_gt_u32_e32 vcc_lo, 4, v8
	s_and_b32 exec_lo, exec_lo, vcc_lo
	s_cbranch_execz .LBB41_55
; %bb.53:
	v_lshl_or_b32 v1, s21, 6, v7
	s_lshl_b32 s0, s1, 6
	v_perm_b32 v3, v2, v3, 0x5040100
	v_perm_b32 v2, v4, v5, 0x5040100
	s_mov_b32 s2, 0
	v_subrev_nc_u32_e32 v6, s0, v1
	v_add3_u32 v9, s24, v0, v1
	v_mov_b32_e32 v1, 0
	s_delay_alu instid0(VALU_DEP_3) | instskip(NEXT) | instid1(VALU_DEP_1)
	v_add_nc_u32_e32 v7, 4, v6
	v_min_u32_e32 v8, s4, v7
	s_delay_alu instid0(VALU_DEP_1) | instskip(SKIP_2) | instid1(VALU_DEP_3)
	v_sub_nc_u32_e32 v6, v6, v8
	v_sub_nc_u32_e32 v0, v7, v8
	v_subrev_nc_u32_e32 v7, s0, v9
	v_dual_mov_b32 v5, v1 :: v_dual_add_nc_u32 v6, 3, v6
	s_delay_alu instid0(VALU_DEP_3) | instskip(NEXT) | instid1(VALU_DEP_3)
	v_mov_b32_e32 v4, v0
	v_mov_b32_e32 v0, v7
	.p2align	6
.LBB41_54:                              ; =>This Inner Loop Header: Depth=1
	s_delay_alu instid0(VALU_DEP_1) | instskip(NEXT) | instid1(VALU_DEP_4)
	v_lshlrev_b64 v[7:8], 1, v[0:1]
	v_add_nc_u32_e32 v6, 1, v6
	s_delay_alu instid0(VALU_DEP_4) | instskip(SKIP_2) | instid1(VALU_DEP_4)
	v_lshlrev_b32_e32 v9, 4, v4
	v_add_co_u32 v4, vcc_lo, v4, 1
	v_add_nc_u32_e32 v0, 1, v0
	v_cmp_lt_u32_e64 s0, 2, v6
	v_add_co_u32 v7, s1, s12, v7
	v_lshrrev_b64 v[9:10], v9, v[2:3]
	v_add_co_ci_u32_e64 v8, s1, s13, v8, s1
	v_add_co_ci_u32_e32 v5, vcc_lo, 0, v5, vcc_lo
	s_or_b32 s2, s0, s2
	global_store_b16 v[7:8], v9, off
	s_and_not1_b32 exec_lo, exec_lo, s2
	s_cbranch_execnz .LBB41_54
.LBB41_55:
	s_endpgm
	.section	.rodata,"a",@progbits
	.p2align	6, 0x0
	.amdhsa_kernel Transform_H_S_100_16_16_VW_4
		.amdhsa_group_segment_fixed_size 0
		.amdhsa_private_segment_fixed_size 64
		.amdhsa_kernarg_size 344
		.amdhsa_user_sgpr_count 14
		.amdhsa_user_sgpr_dispatch_ptr 0
		.amdhsa_user_sgpr_queue_ptr 0
		.amdhsa_user_sgpr_kernarg_segment_ptr 1
		.amdhsa_user_sgpr_dispatch_id 0
		.amdhsa_user_sgpr_private_segment_size 0
		.amdhsa_wavefront_size32 1
		.amdhsa_uses_dynamic_stack 0
		.amdhsa_enable_private_segment 1
		.amdhsa_system_sgpr_workgroup_id_x 1
		.amdhsa_system_sgpr_workgroup_id_y 0
		.amdhsa_system_sgpr_workgroup_id_z 1
		.amdhsa_system_sgpr_workgroup_info 0
		.amdhsa_system_vgpr_workitem_id 0
		.amdhsa_next_free_vgpr 42
		.amdhsa_next_free_sgpr 34
		.amdhsa_reserve_vcc 1
		.amdhsa_float_round_mode_32 0
		.amdhsa_float_round_mode_16_64 0
		.amdhsa_float_denorm_mode_32 3
		.amdhsa_float_denorm_mode_16_64 3
		.amdhsa_dx10_clamp 1
		.amdhsa_ieee_mode 1
		.amdhsa_fp16_overflow 0
		.amdhsa_workgroup_processor_mode 1
		.amdhsa_memory_ordered 1
		.amdhsa_forward_progress 0
		.amdhsa_shared_vgpr_count 0
		.amdhsa_exception_fp_ieee_invalid_op 0
		.amdhsa_exception_fp_denorm_src 0
		.amdhsa_exception_fp_ieee_div_zero 0
		.amdhsa_exception_fp_ieee_overflow 0
		.amdhsa_exception_fp_ieee_underflow 0
		.amdhsa_exception_fp_ieee_inexact 0
		.amdhsa_exception_int_div_zero 0
	.end_amdhsa_kernel
	.text
.Lfunc_end41:
	.size	Transform_H_S_100_16_16_VW_4, .Lfunc_end41-Transform_H_S_100_16_16_VW_4
                                        ; -- End function
	.section	.AMDGPU.csdata,"",@progbits
; Kernel info:
; codeLenInByte = 1832
; NumSgprs: 36
; NumVgprs: 42
; ScratchSize: 64
; MemoryBound: 0
; FloatMode: 240
; IeeeMode: 1
; LDSByteSize: 0 bytes/workgroup (compile time only)
; SGPRBlocks: 4
; VGPRBlocks: 5
; NumSGPRsForWavesPerEU: 36
; NumVGPRsForWavesPerEU: 42
; Occupancy: 16
; WaveLimiterHint : 1
; COMPUTE_PGM_RSRC2:SCRATCH_EN: 1
; COMPUTE_PGM_RSRC2:USER_SGPR: 14
; COMPUTE_PGM_RSRC2:TRAP_HANDLER: 0
; COMPUTE_PGM_RSRC2:TGID_X_EN: 1
; COMPUTE_PGM_RSRC2:TGID_Y_EN: 0
; COMPUTE_PGM_RSRC2:TGID_Z_EN: 1
; COMPUTE_PGM_RSRC2:TIDIG_COMP_CNT: 0
	.text
	.protected	Transform_H_S_011_16_16_VW_1 ; -- Begin function Transform_H_S_011_16_16_VW_1
	.globl	Transform_H_S_011_16_16_VW_1
	.p2align	8
	.type	Transform_H_S_011_16_16_VW_1,@function
Transform_H_S_011_16_16_VW_1:           ; @Transform_H_S_011_16_16_VW_1
; %bb.0:
	s_mov_b64 s[22:23], s[0:1]
	s_load_b32 s0, s[0:1], 0x64
	v_mov_b32_e32 v41, v0
	s_mov_b32 s21, s15
	s_mov_b32 s24, s14
	;; [unrolled: 1-line block ×3, first 2 shown]
	s_waitcnt lgkmcnt(0)
	v_cmp_eq_u16_e64 s0, 0x100, s0
	s_delay_alu instid0(VALU_DEP_1)
	s_and_b32 vcc_lo, exec_lo, s0
	s_mov_b32 s0, -1
	s_cbranch_vccnz .LBB42_2
; %bb.1:
	s_add_u32 s8, s22, 0x58
	s_addc_u32 s9, s23, 0
	s_getpc_b64 s[0:1]
	s_add_u32 s0, s0, __PRETTY_FUNCTION__._ZN10amd_detail9transformIDF16_fLb0ELb1ELb1ELj16ELj16ELj1EEEvPT_PKS1_S4_T0_PKS5_S5_S7_jjjjjjbb@rel32@lo+4
	s_addc_u32 s1, s1, __PRETTY_FUNCTION__._ZN10amd_detail9transformIDF16_fLb0ELb1ELb1ELj16ELj16ELj1EEEvPT_PKS1_S4_T0_PKS5_S5_S7_jjjjjjbb@rel32@hi+12
	s_delay_alu instid0(SALU_CYCLE_1) | instskip(SKIP_3) | instid1(SALU_CYCLE_1)
	v_dual_mov_b32 v0, s0 :: v_dual_mov_b32 v1, s1
	s_getpc_b64 s[2:3]
	s_add_u32 s2, s2, __assert_fail@rel32@lo+4
	s_addc_u32 s3, s3, __assert_fail@rel32@hi+12
	s_swappc_b64 s[30:31], s[2:3]
	; divergent unreachable
	s_mov_b32 s0, 0
.LBB42_2:
	s_delay_alu instid0(SALU_CYCLE_1)
	s_and_not1_b32 vcc_lo, exec_lo, s0
	s_cbranch_vccnz .LBB42_14
; %bb.3:
	s_load_b256 s[0:7], s[22:23], 0x38
	s_waitcnt lgkmcnt(0)
	s_and_b32 s7, s0, 15
	s_lshr_b32 s8, s0, 4
	s_cmp_lg_u32 s7, 0
	s_cselect_b32 s7, -1, 0
	s_delay_alu instid0(SALU_CYCLE_1) | instskip(SKIP_4) | instid1(VALU_DEP_1)
	s_cmp_lg_u32 s7, 0
	s_addc_u32 s10, s8, 0
	s_load_b64 s[8:9], s[22:23], 0x20
	v_cvt_f32_u32_e32 v0, s10
	s_sub_i32 s11, 0, s10
	v_rcp_iflag_f32_e32 v0, v0
	s_waitcnt_depctr 0xfff
	v_mul_f32_e32 v0, 0x4f7ffffe, v0
	s_delay_alu instid0(VALU_DEP_1) | instskip(NEXT) | instid1(VALU_DEP_1)
	v_cvt_u32_f32_e32 v0, v0
	v_readfirstlane_b32 s7, v0
	s_delay_alu instid0(VALU_DEP_1) | instskip(NEXT) | instid1(SALU_CYCLE_1)
	s_mul_i32 s11, s11, s7
	s_mul_hi_u32 s11, s7, s11
	s_delay_alu instid0(SALU_CYCLE_1)
	s_add_i32 s7, s7, s11
	s_waitcnt lgkmcnt(0)
	s_cmp_eq_u64 s[8:9], 0
	s_mul_hi_u32 s11, s24, s7
	s_cbranch_scc1 .LBB42_6
; %bb.4:
	s_load_b32 s7, s[8:9], 0x0
	s_load_b64 s[8:9], s[22:23], 0x30
	s_waitcnt lgkmcnt(0)
	s_cmp_eq_u64 s[8:9], 0
	s_cbranch_scc1 .LBB42_7
.LBB42_5:
	s_load_b32 s12, s[8:9], 0x0
	s_branch .LBB42_8
.LBB42_6:
	s_clause 0x1
	s_load_b32 s7, s[22:23], 0x18
	s_load_b64 s[8:9], s[22:23], 0x30
	s_waitcnt lgkmcnt(0)
	s_cmp_eq_u64 s[8:9], 0
	s_cbranch_scc0 .LBB42_5
.LBB42_7:
	s_load_b32 s12, s[22:23], 0x28
.LBB42_8:
	s_mul_i32 s8, s11, s10
	s_add_i32 s9, s11, 1
	s_sub_i32 s8, s24, s8
	v_and_b32_e32 v0, 15, v41
	s_sub_i32 s13, s8, s10
	s_cmp_ge_u32 s8, s10
	v_lshrrev_b32_e32 v2, 4, v41
	s_cselect_b32 s9, s9, s11
	s_cselect_b32 s8, s13, s8
	s_add_i32 s11, s9, 1
	s_cmp_ge_u32 s8, s10
	s_cselect_b32 s8, s11, s9
	s_delay_alu instid0(SALU_CYCLE_1) | instskip(NEXT) | instid1(SALU_CYCLE_1)
	s_mul_i32 s9, s8, s10
	s_sub_i32 s9, s24, s9
	s_delay_alu instid0(SALU_CYCLE_1) | instskip(SKIP_1) | instid1(VALU_DEP_2)
	v_lshl_or_b32 v1, s9, 4, v0
	v_lshl_add_u32 v0, s8, 4, v2
	v_cmp_gt_u32_e32 vcc_lo, s0, v1
	s_delay_alu instid0(VALU_DEP_2) | instskip(NEXT) | instid1(VALU_DEP_1)
	v_cmp_gt_u32_e64 s0, s1, v0
	s_and_b32 s0, vcc_lo, s0
	s_delay_alu instid0(SALU_CYCLE_1)
	s_and_saveexec_b32 s1, s0
	s_cbranch_execz .LBB42_14
; %bb.9:
	s_clause 0x1
	s_load_b128 s[8:11], s[22:23], 0x0
	s_load_b64 s[0:1], s[22:23], 0x10
	v_dual_mov_b32 v3, 0 :: v_dual_mov_b32 v2, 0
	s_mul_i32 s21, s21, s5
	s_waitcnt lgkmcnt(0)
	s_cmp_eq_u64 s[10:11], 0
	s_cbranch_scc1 .LBB42_11
; %bb.10:
	s_bitcmp1_b32 s6, 0
	v_mov_b32_e32 v5, 0
	s_cselect_b32 vcc_lo, -1, 0
	v_cndmask_b32_e32 v2, v0, v1, vcc_lo
	v_cndmask_b32_e32 v4, v1, v0, vcc_lo
	s_delay_alu instid0(VALU_DEP_2) | instskip(NEXT) | instid1(VALU_DEP_1)
	v_mul_lo_u32 v2, v2, s2
	v_add3_u32 v4, v4, s21, v2
	s_delay_alu instid0(VALU_DEP_1) | instskip(NEXT) | instid1(VALU_DEP_1)
	v_lshlrev_b64 v[4:5], 1, v[4:5]
	v_add_co_u32 v4, vcc_lo, s10, v4
	s_delay_alu instid0(VALU_DEP_2)
	v_add_co_ci_u32_e32 v5, vcc_lo, s11, v5, vcc_lo
	global_load_u16 v2, v[4:5], off
	s_waitcnt vmcnt(0)
	v_cvt_f32_f16_e32 v2, v2
.LBB42_11:
	s_cmp_eq_u64 s[0:1], 0
	s_cbranch_scc1 .LBB42_13
; %bb.12:
	s_load_b32 s2, s[22:23], 0x50
	v_mov_b32_e32 v4, 0
	s_waitcnt lgkmcnt(0)
	s_bitcmp1_b32 s2, 8
	s_cselect_b32 vcc_lo, -1, 0
	v_cndmask_b32_e32 v3, v1, v0, vcc_lo
	v_cndmask_b32_e32 v5, v0, v1, vcc_lo
	s_delay_alu instid0(VALU_DEP_2) | instskip(NEXT) | instid1(VALU_DEP_1)
	v_mul_lo_u32 v3, v3, s3
	v_add3_u32 v3, v5, s21, v3
	s_delay_alu instid0(VALU_DEP_1) | instskip(NEXT) | instid1(VALU_DEP_1)
	v_lshlrev_b64 v[3:4], 1, v[3:4]
	v_add_co_u32 v3, vcc_lo, s0, v3
	s_delay_alu instid0(VALU_DEP_2)
	v_add_co_ci_u32_e32 v4, vcc_lo, s1, v4, vcc_lo
	global_load_u16 v3, v[3:4], off
	s_waitcnt vmcnt(0)
	v_cvt_f32_f16_e32 v3, v3
.LBB42_13:
	v_mul_lo_u32 v4, v1, s4
	v_mov_b32_e32 v1, 0
	s_delay_alu instid0(VALU_DEP_3) | instskip(NEXT) | instid1(VALU_DEP_1)
	v_mul_f32_e32 v3, s12, v3
	v_fma_mixlo_f16 v2, s7, v2, v3
	s_delay_alu instid0(VALU_DEP_4) | instskip(NEXT) | instid1(VALU_DEP_1)
	v_add3_u32 v0, v0, s21, v4
	v_lshlrev_b64 v[0:1], 1, v[0:1]
	s_delay_alu instid0(VALU_DEP_1) | instskip(NEXT) | instid1(VALU_DEP_2)
	v_add_co_u32 v0, vcc_lo, s8, v0
	v_add_co_ci_u32_e32 v1, vcc_lo, s9, v1, vcc_lo
	global_store_b16 v[0:1], v2, off
.LBB42_14:
	s_endpgm
	.section	.rodata,"a",@progbits
	.p2align	6, 0x0
	.amdhsa_kernel Transform_H_S_011_16_16_VW_1
		.amdhsa_group_segment_fixed_size 0
		.amdhsa_private_segment_fixed_size 64
		.amdhsa_kernarg_size 344
		.amdhsa_user_sgpr_count 14
		.amdhsa_user_sgpr_dispatch_ptr 0
		.amdhsa_user_sgpr_queue_ptr 0
		.amdhsa_user_sgpr_kernarg_segment_ptr 1
		.amdhsa_user_sgpr_dispatch_id 0
		.amdhsa_user_sgpr_private_segment_size 0
		.amdhsa_wavefront_size32 1
		.amdhsa_uses_dynamic_stack 0
		.amdhsa_enable_private_segment 1
		.amdhsa_system_sgpr_workgroup_id_x 1
		.amdhsa_system_sgpr_workgroup_id_y 0
		.amdhsa_system_sgpr_workgroup_id_z 1
		.amdhsa_system_sgpr_workgroup_info 0
		.amdhsa_system_vgpr_workitem_id 0
		.amdhsa_next_free_vgpr 42
		.amdhsa_next_free_sgpr 34
		.amdhsa_reserve_vcc 1
		.amdhsa_float_round_mode_32 0
		.amdhsa_float_round_mode_16_64 0
		.amdhsa_float_denorm_mode_32 3
		.amdhsa_float_denorm_mode_16_64 3
		.amdhsa_dx10_clamp 1
		.amdhsa_ieee_mode 1
		.amdhsa_fp16_overflow 0
		.amdhsa_workgroup_processor_mode 1
		.amdhsa_memory_ordered 1
		.amdhsa_forward_progress 0
		.amdhsa_shared_vgpr_count 0
		.amdhsa_exception_fp_ieee_invalid_op 0
		.amdhsa_exception_fp_denorm_src 0
		.amdhsa_exception_fp_ieee_div_zero 0
		.amdhsa_exception_fp_ieee_overflow 0
		.amdhsa_exception_fp_ieee_underflow 0
		.amdhsa_exception_fp_ieee_inexact 0
		.amdhsa_exception_int_div_zero 0
	.end_amdhsa_kernel
	.text
.Lfunc_end42:
	.size	Transform_H_S_011_16_16_VW_1, .Lfunc_end42-Transform_H_S_011_16_16_VW_1
                                        ; -- End function
	.section	.AMDGPU.csdata,"",@progbits
; Kernel info:
; codeLenInByte = 764
; NumSgprs: 36
; NumVgprs: 42
; ScratchSize: 64
; MemoryBound: 0
; FloatMode: 240
; IeeeMode: 1
; LDSByteSize: 0 bytes/workgroup (compile time only)
; SGPRBlocks: 4
; VGPRBlocks: 5
; NumSGPRsForWavesPerEU: 36
; NumVGPRsForWavesPerEU: 42
; Occupancy: 16
; WaveLimiterHint : 1
; COMPUTE_PGM_RSRC2:SCRATCH_EN: 1
; COMPUTE_PGM_RSRC2:USER_SGPR: 14
; COMPUTE_PGM_RSRC2:TRAP_HANDLER: 0
; COMPUTE_PGM_RSRC2:TGID_X_EN: 1
; COMPUTE_PGM_RSRC2:TGID_Y_EN: 0
; COMPUTE_PGM_RSRC2:TGID_Z_EN: 1
; COMPUTE_PGM_RSRC2:TIDIG_COMP_CNT: 0
	.text
	.protected	Transform_H_S_011_16_16_VW_4 ; -- Begin function Transform_H_S_011_16_16_VW_4
	.globl	Transform_H_S_011_16_16_VW_4
	.p2align	8
	.type	Transform_H_S_011_16_16_VW_4,@function
Transform_H_S_011_16_16_VW_4:           ; @Transform_H_S_011_16_16_VW_4
; %bb.0:
	s_mov_b64 s[22:23], s[0:1]
	s_load_b32 s0, s[0:1], 0x64
	v_mov_b32_e32 v41, v0
	s_mov_b32 s24, s15
	s_mov_b32 s21, s14
	;; [unrolled: 1-line block ×3, first 2 shown]
	s_waitcnt lgkmcnt(0)
	v_cmp_eq_u16_e64 s0, 0x100, s0
	s_delay_alu instid0(VALU_DEP_1)
	s_and_b32 vcc_lo, exec_lo, s0
	s_mov_b32 s0, -1
	s_cbranch_vccnz .LBB43_2
; %bb.1:
	s_add_u32 s8, s22, 0x58
	s_addc_u32 s9, s23, 0
	s_getpc_b64 s[0:1]
	s_add_u32 s0, s0, __PRETTY_FUNCTION__._ZN10amd_detail9transformIDF16_fLb0ELb1ELb1ELj16ELj16ELj4EEEvPT_PKS1_S4_T0_PKS5_S5_S7_jjjjjjbb@rel32@lo+4
	s_addc_u32 s1, s1, __PRETTY_FUNCTION__._ZN10amd_detail9transformIDF16_fLb0ELb1ELb1ELj16ELj16ELj4EEEvPT_PKS1_S4_T0_PKS5_S5_S7_jjjjjjbb@rel32@hi+12
	s_delay_alu instid0(SALU_CYCLE_1) | instskip(SKIP_3) | instid1(SALU_CYCLE_1)
	v_dual_mov_b32 v0, s0 :: v_dual_mov_b32 v1, s1
	s_getpc_b64 s[2:3]
	s_add_u32 s2, s2, __assert_fail@rel32@lo+4
	s_addc_u32 s3, s3, __assert_fail@rel32@hi+12
	s_swappc_b64 s[30:31], s[2:3]
	; divergent unreachable
	s_mov_b32 s0, 0
.LBB43_2:
	s_delay_alu instid0(SALU_CYCLE_1)
	s_and_not1_b32 vcc_lo, exec_lo, s0
	s_cbranch_vccnz .LBB43_55
; %bb.3:
	s_load_b128 s[0:3], s[22:23], 0x38
	s_waitcnt lgkmcnt(0)
	s_and_b32 s4, s0, 15
	s_lshr_b32 s5, s0, 4
	s_cmp_lg_u32 s4, 0
	s_cselect_b32 s4, -1, 0
	s_delay_alu instid0(SALU_CYCLE_1) | instskip(SKIP_4) | instid1(VALU_DEP_1)
	s_cmp_lg_u32 s4, 0
	s_addc_u32 s6, s5, 0
	s_load_b64 s[4:5], s[22:23], 0x20
	v_cvt_f32_u32_e32 v0, s6
	s_sub_i32 s8, 0, s6
	v_rcp_iflag_f32_e32 v0, v0
	s_waitcnt_depctr 0xfff
	v_mul_f32_e32 v0, 0x4f7ffffe, v0
	s_delay_alu instid0(VALU_DEP_1) | instskip(NEXT) | instid1(VALU_DEP_1)
	v_cvt_u32_f32_e32 v0, v0
	v_readfirstlane_b32 s7, v0
	s_delay_alu instid0(VALU_DEP_1) | instskip(NEXT) | instid1(SALU_CYCLE_1)
	s_mul_i32 s8, s8, s7
	s_mul_hi_u32 s8, s7, s8
	s_delay_alu instid0(SALU_CYCLE_1)
	s_add_i32 s7, s7, s8
	s_waitcnt lgkmcnt(0)
	s_cmp_eq_u64 s[4:5], 0
	s_mul_hi_u32 s7, s21, s7
	s_cbranch_scc1 .LBB43_6
; %bb.4:
	s_load_b32 s15, s[4:5], 0x0
	s_load_b64 s[4:5], s[22:23], 0x30
	s_waitcnt lgkmcnt(0)
	s_cmp_eq_u64 s[4:5], 0
	s_cbranch_scc1 .LBB43_7
.LBB43_5:
	s_load_b32 s16, s[4:5], 0x0
	s_branch .LBB43_8
.LBB43_6:
	s_clause 0x1
	s_load_b32 s15, s[22:23], 0x18
	s_load_b64 s[4:5], s[22:23], 0x30
	s_waitcnt lgkmcnt(0)
	s_cmp_eq_u64 s[4:5], 0
	s_cbranch_scc0 .LBB43_5
.LBB43_7:
	s_load_b32 s16, s[22:23], 0x28
.LBB43_8:
	s_mul_i32 s4, s7, s6
	s_add_i32 s5, s7, 1
	s_sub_i32 s4, s21, s4
	v_and_b32_e32 v5, 15, v41
	s_sub_i32 s8, s4, s6
	s_cmp_ge_u32 s4, s6
	s_cselect_b32 s5, s5, s7
	s_cselect_b32 s4, s8, s4
	s_add_i32 s7, s5, 1
	s_cmp_ge_u32 s4, s6
	s_cselect_b32 s12, s7, s5
	s_delay_alu instid0(SALU_CYCLE_1) | instskip(NEXT) | instid1(SALU_CYCLE_1)
	s_mul_i32 s14, s12, s6
	s_sub_i32 s4, s21, s14
	s_delay_alu instid0(SALU_CYCLE_1) | instskip(NEXT) | instid1(VALU_DEP_1)
	v_lshl_or_b32 v2, s4, 4, v5
	v_cmp_gt_u32_e32 vcc_lo, s0, v2
	s_and_saveexec_b32 s0, vcc_lo
	s_cbranch_execz .LBB43_55
; %bb.9:
	v_lshrrev_b32_e32 v0, 2, v41
	s_clause 0x1
	s_load_b128 s[8:11], s[22:23], 0x48
	s_load_b128 s[4:7], s[22:23], 0x0
	s_waitcnt lgkmcnt(0)
	s_lshl_b32 s11, s12, 6
	s_load_b64 s[12:13], s[22:23], 0x10
	v_dual_mov_b32 v9, 0 :: v_dual_and_b32 v6, 0xfc, v0
	s_delay_alu instid0(VALU_DEP_1) | instskip(NEXT) | instid1(VALU_DEP_1)
	v_dual_mov_b32 v8, 0 :: v_dual_add_nc_u32 v1, s11, v6
	v_add_nc_u32_e32 v7, 4, v1
	v_mad_u64_u32 v[3:4], null, v2, s2, v[1:2]
	s_bitcmp1_b32 s10, 0
	s_delay_alu instid0(VALU_DEP_2)
	v_sub_nc_u32_e64 v0, v7, s1 clamp
	s_cselect_b32 vcc_lo, -1, 0
	s_cmp_lg_u64 s[6:7], 0
	s_mul_i32 s24, s24, s9
	s_cselect_b32 s10, -1, 0
	v_sub_nc_u32_e32 v12, v1, v0
	v_sub_nc_u32_e32 v10, v3, v0
	s_cmp_eq_u64 s[6:7], 0
	s_cbranch_scc1 .LBB43_11
; %bb.10:
	s_delay_alu instid0(VALU_DEP_2) | instskip(NEXT) | instid1(VALU_DEP_1)
	v_mad_u64_u32 v[3:4], null, v12, s2, v[2:3]
	v_dual_mov_b32 v4, 0 :: v_dual_cndmask_b32 v3, v3, v10
	s_delay_alu instid0(VALU_DEP_1) | instskip(NEXT) | instid1(VALU_DEP_1)
	v_add_nc_u32_e32 v3, s24, v3
	v_lshlrev_b64 v[3:4], 1, v[3:4]
	s_delay_alu instid0(VALU_DEP_1) | instskip(NEXT) | instid1(VALU_DEP_1)
	v_add_co_u32 v3, s0, s6, v3
	v_add_co_ci_u32_e64 v4, s0, s7, v4, s0
	global_load_u16 v3, v[3:4], off
	s_waitcnt vmcnt(0)
	v_cvt_f32_f16_e32 v8, v3
.LBB43_11:
	s_load_b32 s0, s[22:23], 0x50
	v_mad_u64_u32 v[3:4], null, v2, s3, v[1:2]
	v_mul_lo_u32 v11, v12, s3
	s_xor_b32 s17, vcc_lo, -1
	s_delay_alu instid0(VALU_DEP_2)
	v_sub_nc_u32_e32 v13, v3, v0
	s_waitcnt lgkmcnt(0)
	s_bitcmp1_b32 s0, 8
	s_cselect_b32 s0, -1, 0
	s_cmp_lg_u64 s[12:13], 0
	s_cselect_b32 s9, -1, 0
	s_cmp_eq_u64 s[12:13], 0
	s_cbranch_scc1 .LBB43_13
; %bb.12:
	v_dual_mov_b32 v4, 0 :: v_dual_add_nc_u32 v3, v11, v2
	s_delay_alu instid0(VALU_DEP_1) | instskip(NEXT) | instid1(VALU_DEP_1)
	v_cndmask_b32_e64 v3, v13, v3, s0
	v_add_nc_u32_e32 v3, s24, v3
	s_delay_alu instid0(VALU_DEP_1) | instskip(NEXT) | instid1(VALU_DEP_1)
	v_lshlrev_b64 v[3:4], 1, v[3:4]
	v_add_co_u32 v3, vcc_lo, s12, v3
	s_delay_alu instid0(VALU_DEP_2)
	v_add_co_ci_u32_e32 v4, vcc_lo, s13, v4, vcc_lo
	global_load_u16 v3, v[3:4], off
	s_waitcnt vmcnt(0)
	v_cvt_f32_f16_e32 v9, v3
.LBB43_13:
	v_cndmask_b32_e64 v16, 0, 1, s17
	s_and_not1_b32 vcc_lo, exec_lo, s17
	s_cbranch_vccnz .LBB43_15
; %bb.14:
	v_mul_lo_u32 v3, s2, v12
	s_delay_alu instid0(VALU_DEP_1)
	v_add3_u32 v3, v3, s2, v2
	s_xor_b32 s0, s0, -1
	s_cbranch_execz .LBB43_16
	s_branch .LBB43_17
.LBB43_15:
                                        ; implicit-def: $vgpr3
	s_xor_b32 s0, s0, -1
.LBB43_16:
	v_add_nc_u32_e32 v3, 1, v10
.LBB43_17:
	v_cndmask_b32_e64 v17, 0, 1, s0
	s_and_not1_b32 vcc_lo, exec_lo, s0
	s_cbranch_vccnz .LBB43_19
; %bb.18:
	v_add_nc_u32_e32 v4, 1, v13
	s_cbranch_execz .LBB43_20
	s_branch .LBB43_21
.LBB43_19:
                                        ; implicit-def: $vgpr4
.LBB43_20:
	v_add3_u32 v4, v11, s3, v2
.LBB43_21:
	v_cndmask_b32_e64 v18, 0, 1, s10
	v_dual_mov_b32 v15, 0 :: v_dual_mov_b32 v14, 0
	s_and_not1_b32 vcc_lo, exec_lo, s10
	s_cbranch_vccnz .LBB43_23
; %bb.22:
	v_dual_mov_b32 v20, 0 :: v_dual_add_nc_u32 v19, s24, v3
	s_delay_alu instid0(VALU_DEP_1) | instskip(NEXT) | instid1(VALU_DEP_1)
	v_lshlrev_b64 v[19:20], 1, v[19:20]
	v_add_co_u32 v19, vcc_lo, s6, v19
	s_delay_alu instid0(VALU_DEP_2)
	v_add_co_ci_u32_e32 v20, vcc_lo, s7, v20, vcc_lo
	global_load_u16 v3, v[19:20], off
	s_waitcnt vmcnt(0)
	v_cvt_f32_f16_e32 v14, v3
.LBB43_23:
	v_cndmask_b32_e64 v19, 0, 1, s9
	s_and_not1_b32 vcc_lo, exec_lo, s9
	s_cbranch_vccnz .LBB43_25
; %bb.24:
	v_dual_mov_b32 v4, 0 :: v_dual_add_nc_u32 v3, s24, v4
	s_delay_alu instid0(VALU_DEP_1) | instskip(NEXT) | instid1(VALU_DEP_1)
	v_lshlrev_b64 v[3:4], 1, v[3:4]
	v_add_co_u32 v3, vcc_lo, s12, v3
	s_delay_alu instid0(VALU_DEP_2)
	v_add_co_ci_u32_e32 v4, vcc_lo, s13, v4, vcc_lo
	global_load_u16 v3, v[3:4], off
	s_waitcnt vmcnt(0)
	v_cvt_f32_f16_e32 v15, v3
.LBB43_25:
	v_cmp_ne_u32_e32 vcc_lo, 1, v16
	s_cbranch_vccnz .LBB43_27
; %bb.26:
	v_add_nc_u32_e32 v20, 2, v12
	s_delay_alu instid0(VALU_DEP_1)
	v_mad_u64_u32 v[3:4], null, v20, s2, v[2:3]
	s_cbranch_execz .LBB43_28
	s_branch .LBB43_29
.LBB43_27:
                                        ; implicit-def: $vgpr3
.LBB43_28:
	v_add_nc_u32_e32 v3, 2, v10
.LBB43_29:
	v_cmp_ne_u32_e32 vcc_lo, 1, v17
	s_cbranch_vccnz .LBB43_31
; %bb.30:
	v_add_nc_u32_e32 v4, 2, v13
	s_cbranch_execz .LBB43_32
	s_branch .LBB43_33
.LBB43_31:
                                        ; implicit-def: $vgpr4
.LBB43_32:
	s_lshl_b32 s0, s3, 1
	s_delay_alu instid0(SALU_CYCLE_1)
	v_add3_u32 v4, v11, s0, v2
.LBB43_33:
	v_cmp_ne_u32_e32 vcc_lo, 1, v18
	v_dual_mov_b32 v21, 0 :: v_dual_mov_b32 v20, 0
	s_cbranch_vccnz .LBB43_35
; %bb.34:
	v_dual_mov_b32 v23, 0 :: v_dual_add_nc_u32 v22, s24, v3
	s_delay_alu instid0(VALU_DEP_1) | instskip(NEXT) | instid1(VALU_DEP_1)
	v_lshlrev_b64 v[22:23], 1, v[22:23]
	v_add_co_u32 v22, vcc_lo, s6, v22
	s_delay_alu instid0(VALU_DEP_2)
	v_add_co_ci_u32_e32 v23, vcc_lo, s7, v23, vcc_lo
	global_load_u16 v3, v[22:23], off
	s_waitcnt vmcnt(0)
	v_cvt_f32_f16_e32 v20, v3
.LBB43_35:
	v_cmp_ne_u32_e32 vcc_lo, 1, v19
	s_cbranch_vccnz .LBB43_37
; %bb.36:
	v_dual_mov_b32 v4, 0 :: v_dual_add_nc_u32 v3, s24, v4
	s_delay_alu instid0(VALU_DEP_1) | instskip(NEXT) | instid1(VALU_DEP_1)
	v_lshlrev_b64 v[3:4], 1, v[3:4]
	v_add_co_u32 v3, vcc_lo, s12, v3
	s_delay_alu instid0(VALU_DEP_2)
	v_add_co_ci_u32_e32 v4, vcc_lo, s13, v4, vcc_lo
	global_load_u16 v3, v[3:4], off
	s_waitcnt vmcnt(0)
	v_cvt_f32_f16_e32 v21, v3
.LBB43_37:
	v_cmp_ne_u32_e32 vcc_lo, 1, v16
	s_cbranch_vccnz .LBB43_39
; %bb.38:
	v_add_nc_u32_e32 v12, 3, v12
	s_delay_alu instid0(VALU_DEP_1)
	v_mad_u64_u32 v[3:4], null, v12, s2, v[2:3]
	s_cbranch_execz .LBB43_40
	s_branch .LBB43_41
.LBB43_39:
                                        ; implicit-def: $vgpr3
.LBB43_40:
	v_add_nc_u32_e32 v3, 3, v10
.LBB43_41:
	v_cmp_ne_u32_e32 vcc_lo, 1, v17
	s_cbranch_vccnz .LBB43_43
; %bb.42:
	v_add_nc_u32_e32 v4, 3, v13
	s_cbranch_execz .LBB43_44
	s_branch .LBB43_45
.LBB43_43:
                                        ; implicit-def: $vgpr4
.LBB43_44:
	s_mul_i32 s0, s3, 3
	s_delay_alu instid0(SALU_CYCLE_1)
	v_add3_u32 v4, v11, s0, v2
.LBB43_45:
	v_cmp_ne_u32_e32 vcc_lo, 1, v18
	v_dual_mov_b32 v11, 0 :: v_dual_mov_b32 v10, 0
	s_cbranch_vccnz .LBB43_47
; %bb.46:
	v_dual_mov_b32 v13, 0 :: v_dual_add_nc_u32 v12, s24, v3
	s_delay_alu instid0(VALU_DEP_1) | instskip(NEXT) | instid1(VALU_DEP_1)
	v_lshlrev_b64 v[12:13], 1, v[12:13]
	v_add_co_u32 v12, vcc_lo, s6, v12
	s_delay_alu instid0(VALU_DEP_2)
	v_add_co_ci_u32_e32 v13, vcc_lo, s7, v13, vcc_lo
	global_load_u16 v3, v[12:13], off
	s_waitcnt vmcnt(0)
	v_cvt_f32_f16_e32 v10, v3
.LBB43_47:
	v_cmp_ne_u32_e32 vcc_lo, 1, v19
	s_cbranch_vccnz .LBB43_49
; %bb.48:
	v_dual_mov_b32 v4, 0 :: v_dual_add_nc_u32 v3, s24, v4
	s_delay_alu instid0(VALU_DEP_1) | instskip(NEXT) | instid1(VALU_DEP_1)
	v_lshlrev_b64 v[3:4], 1, v[3:4]
	v_add_co_u32 v3, vcc_lo, s12, v3
	s_delay_alu instid0(VALU_DEP_2)
	v_add_co_ci_u32_e32 v4, vcc_lo, s13, v4, vcc_lo
	global_load_u16 v3, v[3:4], off
	s_waitcnt vmcnt(0)
	v_cvt_f32_f16_e32 v11, v3
.LBB43_49:
	v_mul_f32_e32 v3, s16, v9
	v_dual_mul_f32 v9, s16, v15 :: v_dual_mul_f32 v12, s16, v21
	s_delay_alu instid0(VALU_DEP_3) | instskip(SKIP_1) | instid1(VALU_DEP_3)
	v_mul_f32_e32 v11, s16, v11
	s_mov_b32 s0, exec_lo
	v_fma_mixlo_f16 v4, s15, v8, v3
	s_delay_alu instid0(VALU_DEP_3)
	v_fma_mixlo_f16 v8, s15, v14, v9
	v_fma_mixlo_f16 v9, s15, v20, v12
	;; [unrolled: 1-line block ×3, first 2 shown]
	v_cmpx_ge_u32_e64 s1, v7
	s_xor_b32 s0, exec_lo, s0
	s_cbranch_execz .LBB43_51
; %bb.50:
	v_mul_lo_u32 v2, v2, s8
                                        ; implicit-def: $vgpr7
	s_delay_alu instid0(VALU_DEP_1) | instskip(NEXT) | instid1(VALU_DEP_1)
	v_add3_u32 v2, v1, s24, v2
	v_sub_nc_u32_e32 v0, v2, v0
	s_delay_alu instid0(VALU_DEP_1) | instskip(NEXT) | instid1(VALU_DEP_1)
	v_dual_mov_b32 v1, 0 :: v_dual_add_nc_u32 v10, 2, v0
	v_dual_mov_b32 v6, v1 :: v_dual_add_nc_u32 v5, 1, v0
	v_lshlrev_b64 v[12:13], 1, v[0:1]
	v_dual_mov_b32 v11, v1 :: v_dual_add_nc_u32 v0, 3, v0
	s_delay_alu instid0(VALU_DEP_3) | instskip(NEXT) | instid1(VALU_DEP_2)
	v_lshlrev_b64 v[5:6], 1, v[5:6]
	v_lshlrev_b64 v[10:11], 1, v[10:11]
	s_delay_alu instid0(VALU_DEP_4)
	v_add_co_u32 v12, vcc_lo, s4, v12
	v_add_co_ci_u32_e32 v13, vcc_lo, s5, v13, vcc_lo
	v_lshlrev_b64 v[0:1], 1, v[0:1]
	v_add_co_u32 v5, vcc_lo, s4, v5
	v_add_co_ci_u32_e32 v6, vcc_lo, s5, v6, vcc_lo
	v_add_co_u32 v10, vcc_lo, s4, v10
	v_add_co_ci_u32_e32 v11, vcc_lo, s5, v11, vcc_lo
	;; [unrolled: 2-line block ×3, first 2 shown]
	s_clause 0x3
	global_store_b16 v[12:13], v4, off
	global_store_b16 v[5:6], v8, off
	;; [unrolled: 1-line block ×4, first 2 shown]
                                        ; implicit-def: $vgpr5
                                        ; implicit-def: $vgpr6
                                        ; implicit-def: $vgpr1
                                        ; implicit-def: $vgpr0
                                        ; implicit-def: $vgpr4
                                        ; implicit-def: $vgpr8
                                        ; implicit-def: $vgpr9
                                        ; implicit-def: $vgpr3
.LBB43_51:
	s_and_not1_saveexec_b32 s0, s0
	s_cbranch_execz .LBB43_55
; %bb.52:
	v_cmp_gt_u32_e32 vcc_lo, 4, v0
	s_and_b32 exec_lo, exec_lo, vcc_lo
	s_cbranch_execz .LBB43_55
; %bb.53:
	v_lshl_or_b32 v2, s21, 4, v5
	s_lshl_b32 s0, s14, 4
	v_min_u32_e32 v5, s1, v7
	s_add_i32 s11, s11, s24
	v_perm_b32 v3, v3, v9, 0x5040100
	v_subrev_nc_u32_e32 v2, s0, v2
	s_mov_b32 s2, 0
	v_sub_nc_u32_e32 v5, v1, v5
	v_mov_b32_e32 v1, 0
	s_delay_alu instid0(VALU_DEP_3) | instskip(NEXT) | instid1(VALU_DEP_1)
	v_mul_lo_u32 v2, s8, v2
	v_add3_u32 v7, s11, v2, v6
	s_delay_alu instid0(VALU_DEP_4) | instskip(SKIP_2) | instid1(VALU_DEP_4)
	v_add_nc_u32_e32 v6, 3, v5
	v_perm_b32 v2, v8, v4, 0x5040100
	v_dual_mov_b32 v5, v1 :: v_dual_mov_b32 v4, v0
	v_mov_b32_e32 v0, v7
	.p2align	6
.LBB43_54:                              ; =>This Inner Loop Header: Depth=1
	s_delay_alu instid0(VALU_DEP_1) | instskip(SKIP_1) | instid1(VALU_DEP_4)
	v_lshlrev_b64 v[7:8], 1, v[0:1]
	v_add_nc_u32_e32 v6, 1, v6
	v_lshlrev_b32_e32 v9, 4, v4
	v_add_co_u32 v4, vcc_lo, v4, 1
	v_add_nc_u32_e32 v0, 1, v0
	s_delay_alu instid0(VALU_DEP_4)
	v_cmp_lt_u32_e64 s0, 2, v6
	v_add_co_u32 v7, s1, s4, v7
	v_lshrrev_b64 v[9:10], v9, v[2:3]
	v_add_co_ci_u32_e64 v8, s1, s5, v8, s1
	v_add_co_ci_u32_e32 v5, vcc_lo, 0, v5, vcc_lo
	s_or_b32 s2, s0, s2
	global_store_b16 v[7:8], v9, off
	s_and_not1_b32 exec_lo, exec_lo, s2
	s_cbranch_execnz .LBB43_54
.LBB43_55:
	s_endpgm
	.section	.rodata,"a",@progbits
	.p2align	6, 0x0
	.amdhsa_kernel Transform_H_S_011_16_16_VW_4
		.amdhsa_group_segment_fixed_size 0
		.amdhsa_private_segment_fixed_size 64
		.amdhsa_kernarg_size 344
		.amdhsa_user_sgpr_count 14
		.amdhsa_user_sgpr_dispatch_ptr 0
		.amdhsa_user_sgpr_queue_ptr 0
		.amdhsa_user_sgpr_kernarg_segment_ptr 1
		.amdhsa_user_sgpr_dispatch_id 0
		.amdhsa_user_sgpr_private_segment_size 0
		.amdhsa_wavefront_size32 1
		.amdhsa_uses_dynamic_stack 0
		.amdhsa_enable_private_segment 1
		.amdhsa_system_sgpr_workgroup_id_x 1
		.amdhsa_system_sgpr_workgroup_id_y 0
		.amdhsa_system_sgpr_workgroup_id_z 1
		.amdhsa_system_sgpr_workgroup_info 0
		.amdhsa_system_vgpr_workitem_id 0
		.amdhsa_next_free_vgpr 42
		.amdhsa_next_free_sgpr 34
		.amdhsa_reserve_vcc 1
		.amdhsa_float_round_mode_32 0
		.amdhsa_float_round_mode_16_64 0
		.amdhsa_float_denorm_mode_32 3
		.amdhsa_float_denorm_mode_16_64 3
		.amdhsa_dx10_clamp 1
		.amdhsa_ieee_mode 1
		.amdhsa_fp16_overflow 0
		.amdhsa_workgroup_processor_mode 1
		.amdhsa_memory_ordered 1
		.amdhsa_forward_progress 0
		.amdhsa_shared_vgpr_count 0
		.amdhsa_exception_fp_ieee_invalid_op 0
		.amdhsa_exception_fp_denorm_src 0
		.amdhsa_exception_fp_ieee_div_zero 0
		.amdhsa_exception_fp_ieee_overflow 0
		.amdhsa_exception_fp_ieee_underflow 0
		.amdhsa_exception_fp_ieee_inexact 0
		.amdhsa_exception_int_div_zero 0
	.end_amdhsa_kernel
	.text
.Lfunc_end43:
	.size	Transform_H_S_011_16_16_VW_4, .Lfunc_end43-Transform_H_S_011_16_16_VW_4
                                        ; -- End function
	.section	.AMDGPU.csdata,"",@progbits
; Kernel info:
; codeLenInByte = 1856
; NumSgprs: 36
; NumVgprs: 42
; ScratchSize: 64
; MemoryBound: 0
; FloatMode: 240
; IeeeMode: 1
; LDSByteSize: 0 bytes/workgroup (compile time only)
; SGPRBlocks: 4
; VGPRBlocks: 5
; NumSGPRsForWavesPerEU: 36
; NumVGPRsForWavesPerEU: 42
; Occupancy: 16
; WaveLimiterHint : 1
; COMPUTE_PGM_RSRC2:SCRATCH_EN: 1
; COMPUTE_PGM_RSRC2:USER_SGPR: 14
; COMPUTE_PGM_RSRC2:TRAP_HANDLER: 0
; COMPUTE_PGM_RSRC2:TGID_X_EN: 1
; COMPUTE_PGM_RSRC2:TGID_Y_EN: 0
; COMPUTE_PGM_RSRC2:TGID_Z_EN: 1
; COMPUTE_PGM_RSRC2:TIDIG_COMP_CNT: 0
	.text
	.protected	Transform_H_S_010_16_16_VW_1 ; -- Begin function Transform_H_S_010_16_16_VW_1
	.globl	Transform_H_S_010_16_16_VW_1
	.p2align	8
	.type	Transform_H_S_010_16_16_VW_1,@function
Transform_H_S_010_16_16_VW_1:           ; @Transform_H_S_010_16_16_VW_1
; %bb.0:
	s_mov_b64 s[22:23], s[0:1]
	s_load_b32 s0, s[0:1], 0x64
	v_mov_b32_e32 v41, v0
	s_mov_b32 s21, s15
	s_mov_b32 s24, s14
	;; [unrolled: 1-line block ×3, first 2 shown]
	s_waitcnt lgkmcnt(0)
	v_cmp_eq_u16_e64 s0, 0x100, s0
	s_delay_alu instid0(VALU_DEP_1)
	s_and_b32 vcc_lo, exec_lo, s0
	s_mov_b32 s0, -1
	s_cbranch_vccnz .LBB44_2
; %bb.1:
	s_add_u32 s8, s22, 0x58
	s_addc_u32 s9, s23, 0
	s_getpc_b64 s[0:1]
	s_add_u32 s0, s0, __PRETTY_FUNCTION__._ZN10amd_detail9transformIDF16_fLb0ELb1ELb0ELj16ELj16ELj1EEEvPT_PKS1_S4_T0_PKS5_S5_S7_jjjjjjbb@rel32@lo+4
	s_addc_u32 s1, s1, __PRETTY_FUNCTION__._ZN10amd_detail9transformIDF16_fLb0ELb1ELb0ELj16ELj16ELj1EEEvPT_PKS1_S4_T0_PKS5_S5_S7_jjjjjjbb@rel32@hi+12
	s_delay_alu instid0(SALU_CYCLE_1) | instskip(SKIP_3) | instid1(SALU_CYCLE_1)
	v_dual_mov_b32 v0, s0 :: v_dual_mov_b32 v1, s1
	s_getpc_b64 s[2:3]
	s_add_u32 s2, s2, __assert_fail@rel32@lo+4
	s_addc_u32 s3, s3, __assert_fail@rel32@hi+12
	s_swappc_b64 s[30:31], s[2:3]
	; divergent unreachable
	s_mov_b32 s0, 0
.LBB44_2:
	s_delay_alu instid0(SALU_CYCLE_1)
	s_and_not1_b32 vcc_lo, exec_lo, s0
	s_cbranch_vccnz .LBB44_14
; %bb.3:
	s_load_b256 s[0:7], s[22:23], 0x38
	s_waitcnt lgkmcnt(0)
	s_and_b32 s7, s0, 15
	s_lshr_b32 s8, s0, 4
	s_cmp_lg_u32 s7, 0
	s_cselect_b32 s7, -1, 0
	s_delay_alu instid0(SALU_CYCLE_1) | instskip(SKIP_4) | instid1(VALU_DEP_1)
	s_cmp_lg_u32 s7, 0
	s_addc_u32 s10, s8, 0
	s_load_b64 s[8:9], s[22:23], 0x20
	v_cvt_f32_u32_e32 v0, s10
	s_sub_i32 s11, 0, s10
	v_rcp_iflag_f32_e32 v0, v0
	s_waitcnt_depctr 0xfff
	v_mul_f32_e32 v0, 0x4f7ffffe, v0
	s_delay_alu instid0(VALU_DEP_1) | instskip(NEXT) | instid1(VALU_DEP_1)
	v_cvt_u32_f32_e32 v0, v0
	v_readfirstlane_b32 s7, v0
	s_delay_alu instid0(VALU_DEP_1) | instskip(NEXT) | instid1(SALU_CYCLE_1)
	s_mul_i32 s11, s11, s7
	s_mul_hi_u32 s11, s7, s11
	s_delay_alu instid0(SALU_CYCLE_1)
	s_add_i32 s7, s7, s11
	s_waitcnt lgkmcnt(0)
	s_cmp_eq_u64 s[8:9], 0
	s_mul_hi_u32 s11, s24, s7
	s_cbranch_scc1 .LBB44_6
; %bb.4:
	s_load_b32 s7, s[8:9], 0x0
	s_load_b64 s[8:9], s[22:23], 0x30
	s_waitcnt lgkmcnt(0)
	s_cmp_eq_u64 s[8:9], 0
	s_cbranch_scc1 .LBB44_7
.LBB44_5:
	s_load_b32 s12, s[8:9], 0x0
	s_branch .LBB44_8
.LBB44_6:
	s_clause 0x1
	s_load_b32 s7, s[22:23], 0x18
	s_load_b64 s[8:9], s[22:23], 0x30
	s_waitcnt lgkmcnt(0)
	s_cmp_eq_u64 s[8:9], 0
	s_cbranch_scc0 .LBB44_5
.LBB44_7:
	s_load_b32 s12, s[22:23], 0x28
.LBB44_8:
	s_mul_i32 s8, s11, s10
	s_add_i32 s9, s11, 1
	s_sub_i32 s8, s24, s8
	v_and_b32_e32 v0, 15, v41
	s_sub_i32 s13, s8, s10
	s_cmp_ge_u32 s8, s10
	v_lshrrev_b32_e32 v1, 4, v41
	s_cselect_b32 s9, s9, s11
	s_cselect_b32 s8, s13, s8
	s_add_i32 s11, s9, 1
	s_cmp_ge_u32 s8, s10
	s_cselect_b32 s8, s11, s9
	s_delay_alu instid0(SALU_CYCLE_1) | instskip(SKIP_2) | instid1(SALU_CYCLE_1)
	s_mul_i32 s9, s8, s10
	v_lshl_add_u32 v1, s8, 4, v1
	s_sub_i32 s9, s24, s9
	v_lshl_or_b32 v0, s9, 4, v0
	s_delay_alu instid0(VALU_DEP_1) | instskip(NEXT) | instid1(VALU_DEP_3)
	v_cmp_gt_u32_e32 vcc_lo, s0, v0
	v_cmp_gt_u32_e64 s0, s1, v1
	s_delay_alu instid0(VALU_DEP_1) | instskip(NEXT) | instid1(SALU_CYCLE_1)
	s_and_b32 s0, vcc_lo, s0
	s_and_saveexec_b32 s1, s0
	s_cbranch_execz .LBB44_14
; %bb.9:
	s_clause 0x1
	s_load_b128 s[8:11], s[22:23], 0x0
	s_load_b64 s[0:1], s[22:23], 0x10
	v_dual_mov_b32 v3, 0 :: v_dual_mov_b32 v2, 0
	s_mul_i32 s21, s21, s5
	s_waitcnt lgkmcnt(0)
	s_cmp_eq_u64 s[10:11], 0
	s_cbranch_scc1 .LBB44_11
; %bb.10:
	s_bitcmp1_b32 s6, 0
	v_mov_b32_e32 v5, 0
	s_cselect_b32 vcc_lo, -1, 0
	v_cndmask_b32_e32 v2, v1, v0, vcc_lo
	v_cndmask_b32_e32 v4, v0, v1, vcc_lo
	s_delay_alu instid0(VALU_DEP_2) | instskip(NEXT) | instid1(VALU_DEP_1)
	v_mul_lo_u32 v2, v2, s2
	v_add3_u32 v4, v4, s21, v2
	s_delay_alu instid0(VALU_DEP_1) | instskip(NEXT) | instid1(VALU_DEP_1)
	v_lshlrev_b64 v[4:5], 1, v[4:5]
	v_add_co_u32 v4, vcc_lo, s10, v4
	s_delay_alu instid0(VALU_DEP_2)
	v_add_co_ci_u32_e32 v5, vcc_lo, s11, v5, vcc_lo
	global_load_u16 v2, v[4:5], off
	s_waitcnt vmcnt(0)
	v_cvt_f32_f16_e32 v2, v2
.LBB44_11:
	s_cmp_eq_u64 s[0:1], 0
	s_cbranch_scc1 .LBB44_13
; %bb.12:
	s_load_b32 s2, s[22:23], 0x50
	v_mov_b32_e32 v4, 0
	s_waitcnt lgkmcnt(0)
	s_bitcmp1_b32 s2, 8
	s_cselect_b32 vcc_lo, -1, 0
	v_cndmask_b32_e32 v3, v0, v1, vcc_lo
	v_cndmask_b32_e32 v5, v1, v0, vcc_lo
	s_delay_alu instid0(VALU_DEP_2) | instskip(NEXT) | instid1(VALU_DEP_1)
	v_mul_lo_u32 v3, v3, s3
	v_add3_u32 v3, v5, s21, v3
	s_delay_alu instid0(VALU_DEP_1) | instskip(NEXT) | instid1(VALU_DEP_1)
	v_lshlrev_b64 v[3:4], 1, v[3:4]
	v_add_co_u32 v3, vcc_lo, s0, v3
	s_delay_alu instid0(VALU_DEP_2)
	v_add_co_ci_u32_e32 v4, vcc_lo, s1, v4, vcc_lo
	global_load_u16 v3, v[3:4], off
	s_waitcnt vmcnt(0)
	v_cvt_f32_f16_e32 v3, v3
.LBB44_13:
	v_mul_lo_u32 v4, v1, s4
	v_mov_b32_e32 v1, 0
	s_delay_alu instid0(VALU_DEP_3) | instskip(NEXT) | instid1(VALU_DEP_1)
	v_mul_f32_e32 v3, s12, v3
	v_fma_mixlo_f16 v2, s7, v2, v3
	s_delay_alu instid0(VALU_DEP_4) | instskip(NEXT) | instid1(VALU_DEP_1)
	v_add3_u32 v0, v0, s21, v4
	v_lshlrev_b64 v[0:1], 1, v[0:1]
	s_delay_alu instid0(VALU_DEP_1) | instskip(NEXT) | instid1(VALU_DEP_2)
	v_add_co_u32 v0, vcc_lo, s8, v0
	v_add_co_ci_u32_e32 v1, vcc_lo, s9, v1, vcc_lo
	global_store_b16 v[0:1], v2, off
.LBB44_14:
	s_endpgm
	.section	.rodata,"a",@progbits
	.p2align	6, 0x0
	.amdhsa_kernel Transform_H_S_010_16_16_VW_1
		.amdhsa_group_segment_fixed_size 0
		.amdhsa_private_segment_fixed_size 64
		.amdhsa_kernarg_size 344
		.amdhsa_user_sgpr_count 14
		.amdhsa_user_sgpr_dispatch_ptr 0
		.amdhsa_user_sgpr_queue_ptr 0
		.amdhsa_user_sgpr_kernarg_segment_ptr 1
		.amdhsa_user_sgpr_dispatch_id 0
		.amdhsa_user_sgpr_private_segment_size 0
		.amdhsa_wavefront_size32 1
		.amdhsa_uses_dynamic_stack 0
		.amdhsa_enable_private_segment 1
		.amdhsa_system_sgpr_workgroup_id_x 1
		.amdhsa_system_sgpr_workgroup_id_y 0
		.amdhsa_system_sgpr_workgroup_id_z 1
		.amdhsa_system_sgpr_workgroup_info 0
		.amdhsa_system_vgpr_workitem_id 0
		.amdhsa_next_free_vgpr 42
		.amdhsa_next_free_sgpr 34
		.amdhsa_reserve_vcc 1
		.amdhsa_float_round_mode_32 0
		.amdhsa_float_round_mode_16_64 0
		.amdhsa_float_denorm_mode_32 3
		.amdhsa_float_denorm_mode_16_64 3
		.amdhsa_dx10_clamp 1
		.amdhsa_ieee_mode 1
		.amdhsa_fp16_overflow 0
		.amdhsa_workgroup_processor_mode 1
		.amdhsa_memory_ordered 1
		.amdhsa_forward_progress 0
		.amdhsa_shared_vgpr_count 0
		.amdhsa_exception_fp_ieee_invalid_op 0
		.amdhsa_exception_fp_denorm_src 0
		.amdhsa_exception_fp_ieee_div_zero 0
		.amdhsa_exception_fp_ieee_overflow 0
		.amdhsa_exception_fp_ieee_underflow 0
		.amdhsa_exception_fp_ieee_inexact 0
		.amdhsa_exception_int_div_zero 0
	.end_amdhsa_kernel
	.text
.Lfunc_end44:
	.size	Transform_H_S_010_16_16_VW_1, .Lfunc_end44-Transform_H_S_010_16_16_VW_1
                                        ; -- End function
	.section	.AMDGPU.csdata,"",@progbits
; Kernel info:
; codeLenInByte = 760
; NumSgprs: 36
; NumVgprs: 42
; ScratchSize: 64
; MemoryBound: 0
; FloatMode: 240
; IeeeMode: 1
; LDSByteSize: 0 bytes/workgroup (compile time only)
; SGPRBlocks: 4
; VGPRBlocks: 5
; NumSGPRsForWavesPerEU: 36
; NumVGPRsForWavesPerEU: 42
; Occupancy: 16
; WaveLimiterHint : 1
; COMPUTE_PGM_RSRC2:SCRATCH_EN: 1
; COMPUTE_PGM_RSRC2:USER_SGPR: 14
; COMPUTE_PGM_RSRC2:TRAP_HANDLER: 0
; COMPUTE_PGM_RSRC2:TGID_X_EN: 1
; COMPUTE_PGM_RSRC2:TGID_Y_EN: 0
; COMPUTE_PGM_RSRC2:TGID_Z_EN: 1
; COMPUTE_PGM_RSRC2:TIDIG_COMP_CNT: 0
	.text
	.protected	Transform_H_S_010_16_16_VW_4 ; -- Begin function Transform_H_S_010_16_16_VW_4
	.globl	Transform_H_S_010_16_16_VW_4
	.p2align	8
	.type	Transform_H_S_010_16_16_VW_4,@function
Transform_H_S_010_16_16_VW_4:           ; @Transform_H_S_010_16_16_VW_4
; %bb.0:
	s_mov_b64 s[22:23], s[0:1]
	s_load_b32 s0, s[0:1], 0x64
	v_mov_b32_e32 v41, v0
	s_mov_b32 s24, s15
	s_mov_b32 s21, s14
	;; [unrolled: 1-line block ×3, first 2 shown]
	s_waitcnt lgkmcnt(0)
	v_cmp_eq_u16_e64 s0, 0x100, s0
	s_delay_alu instid0(VALU_DEP_1)
	s_and_b32 vcc_lo, exec_lo, s0
	s_mov_b32 s0, -1
	s_cbranch_vccnz .LBB45_2
; %bb.1:
	s_add_u32 s8, s22, 0x58
	s_addc_u32 s9, s23, 0
	s_getpc_b64 s[0:1]
	s_add_u32 s0, s0, __PRETTY_FUNCTION__._ZN10amd_detail9transformIDF16_fLb0ELb1ELb0ELj16ELj16ELj4EEEvPT_PKS1_S4_T0_PKS5_S5_S7_jjjjjjbb@rel32@lo+4
	s_addc_u32 s1, s1, __PRETTY_FUNCTION__._ZN10amd_detail9transformIDF16_fLb0ELb1ELb0ELj16ELj16ELj4EEEvPT_PKS1_S4_T0_PKS5_S5_S7_jjjjjjbb@rel32@hi+12
	s_delay_alu instid0(SALU_CYCLE_1) | instskip(SKIP_3) | instid1(SALU_CYCLE_1)
	v_dual_mov_b32 v0, s0 :: v_dual_mov_b32 v1, s1
	s_getpc_b64 s[2:3]
	s_add_u32 s2, s2, __assert_fail@rel32@lo+4
	s_addc_u32 s3, s3, __assert_fail@rel32@hi+12
	s_swappc_b64 s[30:31], s[2:3]
	; divergent unreachable
	s_mov_b32 s0, 0
.LBB45_2:
	s_delay_alu instid0(SALU_CYCLE_1)
	s_and_not1_b32 vcc_lo, exec_lo, s0
	s_cbranch_vccnz .LBB45_55
; %bb.3:
	s_load_b256 s[4:11], s[22:23], 0x38
	s_waitcnt lgkmcnt(0)
	s_and_b32 s0, s4, 63
	s_lshr_b32 s1, s4, 6
	s_cmp_lg_u32 s0, 0
	s_cselect_b32 s0, -1, 0
	s_delay_alu instid0(SALU_CYCLE_1) | instskip(SKIP_4) | instid1(VALU_DEP_1)
	s_cmp_lg_u32 s0, 0
	s_addc_u32 s2, s1, 0
	s_load_b64 s[0:1], s[22:23], 0x20
	v_cvt_f32_u32_e32 v0, s2
	s_sub_i32 s11, 0, s2
	v_rcp_iflag_f32_e32 v0, v0
	s_waitcnt_depctr 0xfff
	v_mul_f32_e32 v0, 0x4f7ffffe, v0
	s_delay_alu instid0(VALU_DEP_1) | instskip(NEXT) | instid1(VALU_DEP_1)
	v_cvt_u32_f32_e32 v0, v0
	v_readfirstlane_b32 s3, v0
	s_delay_alu instid0(VALU_DEP_1) | instskip(NEXT) | instid1(SALU_CYCLE_1)
	s_mul_i32 s11, s11, s3
	s_mul_hi_u32 s11, s3, s11
	s_delay_alu instid0(SALU_CYCLE_1)
	s_add_i32 s3, s3, s11
	s_waitcnt lgkmcnt(0)
	s_cmp_eq_u64 s[0:1], 0
	s_mul_hi_u32 s3, s21, s3
	s_cbranch_scc1 .LBB45_6
; %bb.4:
	s_load_b32 s11, s[0:1], 0x0
	s_load_b64 s[0:1], s[22:23], 0x30
	s_waitcnt lgkmcnt(0)
	s_cmp_eq_u64 s[0:1], 0
	s_cbranch_scc1 .LBB45_7
.LBB45_5:
	s_load_b32 s16, s[0:1], 0x0
	s_branch .LBB45_8
.LBB45_6:
	s_clause 0x1
	s_load_b32 s11, s[22:23], 0x18
	s_load_b64 s[0:1], s[22:23], 0x30
	s_waitcnt lgkmcnt(0)
	s_cmp_eq_u64 s[0:1], 0
	s_cbranch_scc0 .LBB45_5
.LBB45_7:
	s_load_b32 s16, s[22:23], 0x28
.LBB45_8:
	s_mul_i32 s0, s3, s2
	s_add_i32 s1, s3, 1
	s_sub_i32 s0, s21, s0
	v_lshrrev_b32_e32 v0, 4, v41
	s_sub_i32 s12, s0, s2
	s_cmp_ge_u32 s0, s2
	s_cselect_b32 s1, s1, s3
	s_cselect_b32 s0, s12, s0
	s_add_i32 s3, s1, 1
	s_cmp_ge_u32 s0, s2
	s_mov_b32 s0, exec_lo
	s_cselect_b32 s1, s3, s1
	s_delay_alu instid0(SALU_CYCLE_1) | instskip(NEXT) | instid1(VALU_DEP_1)
	v_lshl_add_u32 v0, s1, 4, v0
	v_cmpx_gt_u32_e64 s5, v0
	s_cbranch_execz .LBB45_55
; %bb.9:
	v_dual_mov_b32 v12, 0 :: v_dual_lshlrev_b32 v1, 2, v41
	s_mul_i32 s1, s1, s2
	s_clause 0x1
	s_load_b128 s[12:15], s[22:23], 0x0
	s_load_b64 s[2:3], s[22:23], 0x10
	v_dual_mov_b32 v13, 0 :: v_dual_and_b32 v8, 60, v1
	s_sub_i32 s0, s21, s1
	s_bitcmp1_b32 s10, 0
	s_mul_i32 s24, s24, s9
	s_delay_alu instid0(VALU_DEP_1) | instskip(SKIP_1) | instid1(VALU_DEP_1)
	v_lshl_or_b32 v10, s0, 6, v8
	s_cselect_b32 vcc_lo, -1, 0
	v_add_nc_u32_e32 v11, 4, v10
	s_delay_alu instid0(VALU_DEP_1) | instskip(SKIP_3) | instid1(VALU_DEP_1)
	v_sub_nc_u32_e64 v9, v11, s4 clamp
	s_waitcnt lgkmcnt(0)
	s_cmp_lg_u64 s[14:15], 0
	s_cselect_b32 s5, -1, 0
	v_sub_nc_u32_e32 v1, v10, v9
	s_cmp_eq_u64 s[14:15], 0
	s_delay_alu instid0(VALU_DEP_1)
	v_mad_u64_u32 v[4:5], null, v0, s6, v[1:2]
	s_cbranch_scc1 .LBB45_11
; %bb.10:
	v_mad_u64_u32 v[2:3], null, v1, s6, v[0:1]
	s_delay_alu instid0(VALU_DEP_1) | instskip(NEXT) | instid1(VALU_DEP_1)
	v_dual_mov_b32 v3, 0 :: v_dual_cndmask_b32 v2, v4, v2
	v_add_nc_u32_e32 v2, s24, v2
	s_delay_alu instid0(VALU_DEP_1) | instskip(NEXT) | instid1(VALU_DEP_1)
	v_lshlrev_b64 v[2:3], 1, v[2:3]
	v_add_co_u32 v2, s0, s14, v2
	s_delay_alu instid0(VALU_DEP_1)
	v_add_co_ci_u32_e64 v3, s0, s15, v3, s0
	global_load_u16 v2, v[2:3], off
	s_waitcnt vmcnt(0)
	v_cvt_f32_f16_e32 v12, v2
.LBB45_11:
	s_load_b32 s0, s[22:23], 0x50
	v_mad_u64_u32 v[2:3], null, v0, s7, v[1:2]
	s_xor_b32 s10, vcc_lo, -1
	s_waitcnt lgkmcnt(0)
	s_bitcmp1_b32 s0, 8
	s_cselect_b32 s0, -1, 0
	s_cmp_lg_u64 s[2:3], 0
	s_cselect_b32 s9, -1, 0
	s_cmp_eq_u64 s[2:3], 0
	s_cbranch_scc1 .LBB45_13
; %bb.12:
	v_mad_u64_u32 v[5:6], null, v1, s7, v[0:1]
	s_delay_alu instid0(VALU_DEP_1) | instskip(NEXT) | instid1(VALU_DEP_1)
	v_cndmask_b32_e64 v3, v5, v2, s0
	v_dual_mov_b32 v6, 0 :: v_dual_add_nc_u32 v5, s24, v3
	s_delay_alu instid0(VALU_DEP_1) | instskip(NEXT) | instid1(VALU_DEP_1)
	v_lshlrev_b64 v[5:6], 1, v[5:6]
	v_add_co_u32 v5, vcc_lo, s2, v5
	s_delay_alu instid0(VALU_DEP_2)
	v_add_co_ci_u32_e32 v6, vcc_lo, s3, v6, vcc_lo
	global_load_u16 v3, v[5:6], off
	s_waitcnt vmcnt(0)
	v_cvt_f32_f16_e32 v13, v3
.LBB45_13:
	v_cndmask_b32_e64 v3, 0, 1, s10
	s_and_not1_b32 vcc_lo, exec_lo, s10
	s_cbranch_vccnz .LBB45_15
; %bb.14:
	v_add_nc_u32_e32 v5, 1, v4
	s_xor_b32 s0, s0, -1
	s_cbranch_execz .LBB45_16
	s_branch .LBB45_17
.LBB45_15:
                                        ; implicit-def: $vgpr5
	s_xor_b32 s0, s0, -1
.LBB45_16:
	v_mul_lo_u32 v5, s6, v1
	s_delay_alu instid0(VALU_DEP_1)
	v_add3_u32 v5, v5, s6, v0
.LBB45_17:
	v_cndmask_b32_e64 v16, 0, 1, s0
	s_and_not1_b32 vcc_lo, exec_lo, s0
	s_cbranch_vccnz .LBB45_19
; %bb.18:
	v_mul_lo_u32 v6, s7, v1
	s_delay_alu instid0(VALU_DEP_1)
	v_add3_u32 v6, v6, s7, v0
	s_cbranch_execz .LBB45_20
	s_branch .LBB45_21
.LBB45_19:
                                        ; implicit-def: $vgpr6
.LBB45_20:
	v_add_nc_u32_e32 v6, 1, v2
.LBB45_21:
	v_cndmask_b32_e64 v17, 0, 1, s5
	v_dual_mov_b32 v15, 0 :: v_dual_mov_b32 v14, 0
	s_and_not1_b32 vcc_lo, exec_lo, s5
	s_cbranch_vccnz .LBB45_23
; %bb.22:
	v_dual_mov_b32 v19, 0 :: v_dual_add_nc_u32 v18, s24, v5
	s_delay_alu instid0(VALU_DEP_1) | instskip(NEXT) | instid1(VALU_DEP_1)
	v_lshlrev_b64 v[18:19], 1, v[18:19]
	v_add_co_u32 v18, vcc_lo, s14, v18
	s_delay_alu instid0(VALU_DEP_2)
	v_add_co_ci_u32_e32 v19, vcc_lo, s15, v19, vcc_lo
	global_load_u16 v5, v[18:19], off
	s_waitcnt vmcnt(0)
	v_cvt_f32_f16_e32 v14, v5
.LBB45_23:
	v_cndmask_b32_e64 v18, 0, 1, s9
	s_and_not1_b32 vcc_lo, exec_lo, s9
	s_cbranch_vccnz .LBB45_25
; %bb.24:
	v_dual_mov_b32 v6, 0 :: v_dual_add_nc_u32 v5, s24, v6
	s_delay_alu instid0(VALU_DEP_1) | instskip(NEXT) | instid1(VALU_DEP_1)
	v_lshlrev_b64 v[5:6], 1, v[5:6]
	v_add_co_u32 v5, vcc_lo, s2, v5
	s_delay_alu instid0(VALU_DEP_2)
	v_add_co_ci_u32_e32 v6, vcc_lo, s3, v6, vcc_lo
	global_load_u16 v5, v[5:6], off
	s_waitcnt vmcnt(0)
	v_cvt_f32_f16_e32 v15, v5
.LBB45_25:
	v_cmp_ne_u32_e32 vcc_lo, 1, v3
	s_cbranch_vccnz .LBB45_27
; %bb.26:
	v_add_nc_u32_e32 v5, 2, v4
	v_add_nc_u32_e32 v19, 2, v1
	s_cbranch_execz .LBB45_28
	s_branch .LBB45_29
.LBB45_27:
                                        ; implicit-def: $vgpr5
	v_add_nc_u32_e32 v19, 2, v1
.LBB45_28:
	s_delay_alu instid0(VALU_DEP_1)
	v_mad_u64_u32 v[5:6], null, v19, s6, v[0:1]
.LBB45_29:
	v_cmp_ne_u32_e32 vcc_lo, 1, v16
	s_cbranch_vccnz .LBB45_31
; %bb.30:
	v_mad_u64_u32 v[6:7], null, v19, s7, v[0:1]
	s_cbranch_execz .LBB45_32
	s_branch .LBB45_33
.LBB45_31:
                                        ; implicit-def: $vgpr6
.LBB45_32:
	v_add_nc_u32_e32 v6, 2, v2
.LBB45_33:
	v_cmp_ne_u32_e32 vcc_lo, 1, v17
	v_mov_b32_e32 v19, 0
	v_mov_b32_e32 v7, 0
	s_cbranch_vccnz .LBB45_35
; %bb.34:
	v_dual_mov_b32 v21, 0 :: v_dual_add_nc_u32 v20, s24, v5
	s_delay_alu instid0(VALU_DEP_1) | instskip(NEXT) | instid1(VALU_DEP_1)
	v_lshlrev_b64 v[20:21], 1, v[20:21]
	v_add_co_u32 v20, vcc_lo, s14, v20
	s_delay_alu instid0(VALU_DEP_2)
	v_add_co_ci_u32_e32 v21, vcc_lo, s15, v21, vcc_lo
	global_load_u16 v5, v[20:21], off
	s_waitcnt vmcnt(0)
	v_cvt_f32_f16_e32 v7, v5
.LBB45_35:
	v_cmp_ne_u32_e32 vcc_lo, 1, v18
	s_cbranch_vccnz .LBB45_37
; %bb.36:
	v_dual_mov_b32 v6, 0 :: v_dual_add_nc_u32 v5, s24, v6
	s_delay_alu instid0(VALU_DEP_1) | instskip(NEXT) | instid1(VALU_DEP_1)
	v_lshlrev_b64 v[5:6], 1, v[5:6]
	v_add_co_u32 v5, vcc_lo, s2, v5
	s_delay_alu instid0(VALU_DEP_2)
	v_add_co_ci_u32_e32 v6, vcc_lo, s3, v6, vcc_lo
	global_load_u16 v5, v[5:6], off
	s_waitcnt vmcnt(0)
	v_cvt_f32_f16_e32 v19, v5
.LBB45_37:
	v_cmp_ne_u32_e32 vcc_lo, 1, v3
	s_cbranch_vccnz .LBB45_39
; %bb.38:
	v_add_nc_u32_e32 v3, 3, v4
	v_add_nc_u32_e32 v1, 3, v1
	s_cbranch_execz .LBB45_40
	s_branch .LBB45_41
.LBB45_39:
                                        ; implicit-def: $vgpr3
	v_add_nc_u32_e32 v1, 3, v1
.LBB45_40:
	s_delay_alu instid0(VALU_DEP_1)
	v_mad_u64_u32 v[3:4], null, v1, s6, v[0:1]
.LBB45_41:
	v_cmp_ne_u32_e32 vcc_lo, 1, v16
	s_cbranch_vccnz .LBB45_43
; %bb.42:
	v_mad_u64_u32 v[4:5], null, v1, s7, v[0:1]
	s_cbranch_execz .LBB45_44
	s_branch .LBB45_45
.LBB45_43:
                                        ; implicit-def: $vgpr4
.LBB45_44:
	v_add_nc_u32_e32 v4, 3, v2
.LBB45_45:
	v_cmp_ne_u32_e32 vcc_lo, 1, v17
	v_dual_mov_b32 v2, 0 :: v_dual_mov_b32 v1, 0
	s_cbranch_vccnz .LBB45_47
; %bb.46:
	v_dual_mov_b32 v6, 0 :: v_dual_add_nc_u32 v5, s24, v3
	s_delay_alu instid0(VALU_DEP_1) | instskip(NEXT) | instid1(VALU_DEP_1)
	v_lshlrev_b64 v[5:6], 1, v[5:6]
	v_add_co_u32 v5, vcc_lo, s14, v5
	s_delay_alu instid0(VALU_DEP_2)
	v_add_co_ci_u32_e32 v6, vcc_lo, s15, v6, vcc_lo
	global_load_u16 v1, v[5:6], off
	s_waitcnt vmcnt(0)
	v_cvt_f32_f16_e32 v1, v1
.LBB45_47:
	v_cmp_ne_u32_e32 vcc_lo, 1, v18
	s_cbranch_vccnz .LBB45_49
; %bb.48:
	v_dual_mov_b32 v3, 0 :: v_dual_add_nc_u32 v2, s24, v4
	s_delay_alu instid0(VALU_DEP_1) | instskip(NEXT) | instid1(VALU_DEP_1)
	v_lshlrev_b64 v[2:3], 1, v[2:3]
	v_add_co_u32 v2, vcc_lo, s2, v2
	s_delay_alu instid0(VALU_DEP_2)
	v_add_co_ci_u32_e32 v3, vcc_lo, s3, v3, vcc_lo
	global_load_u16 v2, v[2:3], off
	s_waitcnt vmcnt(0)
	v_cvt_f32_f16_e32 v2, v2
.LBB45_49:
	v_dual_mul_f32 v3, s16, v13 :: v_dual_mul_f32 v4, s16, v15
	v_mul_f32_e32 v6, s16, v19
	s_delay_alu instid0(VALU_DEP_3) | instskip(SKIP_1) | instid1(VALU_DEP_4)
	v_mul_f32_e32 v2, s16, v2
	v_mul_lo_u32 v0, v0, s8
	v_fma_mixlo_f16 v5, s11, v12, v3
	v_fma_mixlo_f16 v4, s11, v14, v4
	;; [unrolled: 1-line block ×4, first 2 shown]
	s_mov_b32 s0, exec_lo
	v_cmpx_ge_u32_e64 s4, v11
	s_xor_b32 s0, exec_lo, s0
	s_cbranch_execz .LBB45_51
; %bb.50:
	v_add_nc_u32_e32 v1, s24, v10
	s_delay_alu instid0(VALU_DEP_1) | instskip(NEXT) | instid1(VALU_DEP_1)
	v_sub_nc_u32_e32 v6, v1, v9
	v_dual_mov_b32 v1, 0 :: v_dual_add_nc_u32 v0, v6, v0
	s_delay_alu instid0(VALU_DEP_1) | instskip(NEXT) | instid1(VALU_DEP_2)
	v_mov_b32_e32 v7, v1
	v_dual_mov_b32 v9, v1 :: v_dual_add_nc_u32 v8, 2, v0
	v_add_nc_u32_e32 v6, 1, v0
	v_lshlrev_b64 v[10:11], 1, v[0:1]
	v_add_nc_u32_e32 v0, 3, v0
	s_delay_alu instid0(VALU_DEP_4) | instskip(NEXT) | instid1(VALU_DEP_4)
	v_lshlrev_b64 v[8:9], 1, v[8:9]
	v_lshlrev_b64 v[6:7], 1, v[6:7]
	s_delay_alu instid0(VALU_DEP_4) | instskip(SKIP_2) | instid1(VALU_DEP_4)
	v_add_co_u32 v10, vcc_lo, s12, v10
	v_add_co_ci_u32_e32 v11, vcc_lo, s13, v11, vcc_lo
	v_lshlrev_b64 v[0:1], 1, v[0:1]
	v_add_co_u32 v6, vcc_lo, s12, v6
	v_add_co_ci_u32_e32 v7, vcc_lo, s13, v7, vcc_lo
	v_add_co_u32 v8, vcc_lo, s12, v8
	v_add_co_ci_u32_e32 v9, vcc_lo, s13, v9, vcc_lo
	;; [unrolled: 2-line block ×3, first 2 shown]
	s_clause 0x3
	global_store_b16 v[10:11], v5, off
	global_store_b16 v[6:7], v4, off
	;; [unrolled: 1-line block ×4, first 2 shown]
                                        ; implicit-def: $vgpr9
                                        ; implicit-def: $vgpr2
                                        ; implicit-def: $vgpr3
                                        ; implicit-def: $vgpr4
                                        ; implicit-def: $vgpr5
                                        ; implicit-def: $vgpr8
                                        ; implicit-def: $vgpr0
.LBB45_51:
	s_and_not1_saveexec_b32 s0, s0
	s_cbranch_execz .LBB45_55
; %bb.52:
	v_cmp_gt_u32_e32 vcc_lo, 4, v9
	s_and_b32 exec_lo, exec_lo, vcc_lo
	s_cbranch_execz .LBB45_55
; %bb.53:
	v_lshl_or_b32 v1, s21, 6, v8
	s_lshl_b32 s0, s1, 6
	v_perm_b32 v3, v2, v3, 0x5040100
	v_perm_b32 v2, v4, v5, 0x5040100
	s_mov_b32 s2, 0
	v_subrev_nc_u32_e32 v6, s0, v1
	v_add3_u32 v9, s24, v0, v1
	v_mov_b32_e32 v1, 0
	s_delay_alu instid0(VALU_DEP_3) | instskip(NEXT) | instid1(VALU_DEP_1)
	v_add_nc_u32_e32 v7, 4, v6
	v_min_u32_e32 v8, s4, v7
	s_delay_alu instid0(VALU_DEP_1) | instskip(SKIP_2) | instid1(VALU_DEP_3)
	v_sub_nc_u32_e32 v6, v6, v8
	v_sub_nc_u32_e32 v0, v7, v8
	v_subrev_nc_u32_e32 v7, s0, v9
	v_dual_mov_b32 v5, v1 :: v_dual_add_nc_u32 v6, 3, v6
	s_delay_alu instid0(VALU_DEP_3) | instskip(NEXT) | instid1(VALU_DEP_3)
	v_mov_b32_e32 v4, v0
	v_mov_b32_e32 v0, v7
	.p2align	6
.LBB45_54:                              ; =>This Inner Loop Header: Depth=1
	s_delay_alu instid0(VALU_DEP_1) | instskip(NEXT) | instid1(VALU_DEP_4)
	v_lshlrev_b64 v[7:8], 1, v[0:1]
	v_add_nc_u32_e32 v6, 1, v6
	s_delay_alu instid0(VALU_DEP_4) | instskip(SKIP_2) | instid1(VALU_DEP_4)
	v_lshlrev_b32_e32 v9, 4, v4
	v_add_co_u32 v4, vcc_lo, v4, 1
	v_add_nc_u32_e32 v0, 1, v0
	v_cmp_lt_u32_e64 s0, 2, v6
	v_add_co_u32 v7, s1, s12, v7
	v_lshrrev_b64 v[9:10], v9, v[2:3]
	v_add_co_ci_u32_e64 v8, s1, s13, v8, s1
	v_add_co_ci_u32_e32 v5, vcc_lo, 0, v5, vcc_lo
	s_or_b32 s2, s0, s2
	global_store_b16 v[7:8], v9, off
	s_and_not1_b32 exec_lo, exec_lo, s2
	s_cbranch_execnz .LBB45_54
.LBB45_55:
	s_endpgm
	.section	.rodata,"a",@progbits
	.p2align	6, 0x0
	.amdhsa_kernel Transform_H_S_010_16_16_VW_4
		.amdhsa_group_segment_fixed_size 0
		.amdhsa_private_segment_fixed_size 64
		.amdhsa_kernarg_size 344
		.amdhsa_user_sgpr_count 14
		.amdhsa_user_sgpr_dispatch_ptr 0
		.amdhsa_user_sgpr_queue_ptr 0
		.amdhsa_user_sgpr_kernarg_segment_ptr 1
		.amdhsa_user_sgpr_dispatch_id 0
		.amdhsa_user_sgpr_private_segment_size 0
		.amdhsa_wavefront_size32 1
		.amdhsa_uses_dynamic_stack 0
		.amdhsa_enable_private_segment 1
		.amdhsa_system_sgpr_workgroup_id_x 1
		.amdhsa_system_sgpr_workgroup_id_y 0
		.amdhsa_system_sgpr_workgroup_id_z 1
		.amdhsa_system_sgpr_workgroup_info 0
		.amdhsa_system_vgpr_workitem_id 0
		.amdhsa_next_free_vgpr 42
		.amdhsa_next_free_sgpr 34
		.amdhsa_reserve_vcc 1
		.amdhsa_float_round_mode_32 0
		.amdhsa_float_round_mode_16_64 0
		.amdhsa_float_denorm_mode_32 3
		.amdhsa_float_denorm_mode_16_64 3
		.amdhsa_dx10_clamp 1
		.amdhsa_ieee_mode 1
		.amdhsa_fp16_overflow 0
		.amdhsa_workgroup_processor_mode 1
		.amdhsa_memory_ordered 1
		.amdhsa_forward_progress 0
		.amdhsa_shared_vgpr_count 0
		.amdhsa_exception_fp_ieee_invalid_op 0
		.amdhsa_exception_fp_denorm_src 0
		.amdhsa_exception_fp_ieee_div_zero 0
		.amdhsa_exception_fp_ieee_overflow 0
		.amdhsa_exception_fp_ieee_underflow 0
		.amdhsa_exception_fp_ieee_inexact 0
		.amdhsa_exception_int_div_zero 0
	.end_amdhsa_kernel
	.text
.Lfunc_end45:
	.size	Transform_H_S_010_16_16_VW_4, .Lfunc_end45-Transform_H_S_010_16_16_VW_4
                                        ; -- End function
	.section	.AMDGPU.csdata,"",@progbits
; Kernel info:
; codeLenInByte = 1836
; NumSgprs: 36
; NumVgprs: 42
; ScratchSize: 64
; MemoryBound: 0
; FloatMode: 240
; IeeeMode: 1
; LDSByteSize: 0 bytes/workgroup (compile time only)
; SGPRBlocks: 4
; VGPRBlocks: 5
; NumSGPRsForWavesPerEU: 36
; NumVGPRsForWavesPerEU: 42
; Occupancy: 16
; WaveLimiterHint : 1
; COMPUTE_PGM_RSRC2:SCRATCH_EN: 1
; COMPUTE_PGM_RSRC2:USER_SGPR: 14
; COMPUTE_PGM_RSRC2:TRAP_HANDLER: 0
; COMPUTE_PGM_RSRC2:TGID_X_EN: 1
; COMPUTE_PGM_RSRC2:TGID_Y_EN: 0
; COMPUTE_PGM_RSRC2:TGID_Z_EN: 1
; COMPUTE_PGM_RSRC2:TIDIG_COMP_CNT: 0
	.text
	.protected	Transform_H_S_001_16_16_VW_1 ; -- Begin function Transform_H_S_001_16_16_VW_1
	.globl	Transform_H_S_001_16_16_VW_1
	.p2align	8
	.type	Transform_H_S_001_16_16_VW_1,@function
Transform_H_S_001_16_16_VW_1:           ; @Transform_H_S_001_16_16_VW_1
; %bb.0:
	s_mov_b64 s[22:23], s[0:1]
	s_load_b32 s0, s[0:1], 0x64
	v_mov_b32_e32 v41, v0
	s_mov_b32 s21, s15
	s_mov_b32 s24, s14
	;; [unrolled: 1-line block ×3, first 2 shown]
	s_waitcnt lgkmcnt(0)
	v_cmp_eq_u16_e64 s0, 0x100, s0
	s_delay_alu instid0(VALU_DEP_1)
	s_and_b32 vcc_lo, exec_lo, s0
	s_mov_b32 s0, -1
	s_cbranch_vccnz .LBB46_2
; %bb.1:
	s_add_u32 s8, s22, 0x58
	s_addc_u32 s9, s23, 0
	s_getpc_b64 s[0:1]
	s_add_u32 s0, s0, __PRETTY_FUNCTION__._ZN10amd_detail9transformIDF16_fLb0ELb0ELb1ELj16ELj16ELj1EEEvPT_PKS1_S4_T0_PKS5_S5_S7_jjjjjjbb@rel32@lo+4
	s_addc_u32 s1, s1, __PRETTY_FUNCTION__._ZN10amd_detail9transformIDF16_fLb0ELb0ELb1ELj16ELj16ELj1EEEvPT_PKS1_S4_T0_PKS5_S5_S7_jjjjjjbb@rel32@hi+12
	s_delay_alu instid0(SALU_CYCLE_1) | instskip(SKIP_3) | instid1(SALU_CYCLE_1)
	v_dual_mov_b32 v0, s0 :: v_dual_mov_b32 v1, s1
	s_getpc_b64 s[2:3]
	s_add_u32 s2, s2, __assert_fail@rel32@lo+4
	s_addc_u32 s3, s3, __assert_fail@rel32@hi+12
	s_swappc_b64 s[30:31], s[2:3]
	; divergent unreachable
	s_mov_b32 s0, 0
.LBB46_2:
	s_delay_alu instid0(SALU_CYCLE_1)
	s_and_not1_b32 vcc_lo, exec_lo, s0
	s_cbranch_vccnz .LBB46_14
; %bb.3:
	s_load_b256 s[0:7], s[22:23], 0x38
	s_waitcnt lgkmcnt(0)
	s_and_b32 s7, s0, 15
	s_lshr_b32 s8, s0, 4
	s_cmp_lg_u32 s7, 0
	s_cselect_b32 s7, -1, 0
	s_delay_alu instid0(SALU_CYCLE_1) | instskip(SKIP_4) | instid1(VALU_DEP_1)
	s_cmp_lg_u32 s7, 0
	s_addc_u32 s10, s8, 0
	s_load_b64 s[8:9], s[22:23], 0x20
	v_cvt_f32_u32_e32 v0, s10
	s_sub_i32 s11, 0, s10
	v_rcp_iflag_f32_e32 v0, v0
	s_waitcnt_depctr 0xfff
	v_mul_f32_e32 v0, 0x4f7ffffe, v0
	s_delay_alu instid0(VALU_DEP_1) | instskip(NEXT) | instid1(VALU_DEP_1)
	v_cvt_u32_f32_e32 v0, v0
	v_readfirstlane_b32 s7, v0
	s_delay_alu instid0(VALU_DEP_1) | instskip(NEXT) | instid1(SALU_CYCLE_1)
	s_mul_i32 s11, s11, s7
	s_mul_hi_u32 s11, s7, s11
	s_delay_alu instid0(SALU_CYCLE_1)
	s_add_i32 s7, s7, s11
	s_waitcnt lgkmcnt(0)
	s_cmp_eq_u64 s[8:9], 0
	s_mul_hi_u32 s11, s24, s7
	s_cbranch_scc1 .LBB46_6
; %bb.4:
	s_load_b32 s7, s[8:9], 0x0
	s_load_b64 s[8:9], s[22:23], 0x30
	s_waitcnt lgkmcnt(0)
	s_cmp_eq_u64 s[8:9], 0
	s_cbranch_scc1 .LBB46_7
.LBB46_5:
	s_load_b32 s12, s[8:9], 0x0
	s_branch .LBB46_8
.LBB46_6:
	s_clause 0x1
	s_load_b32 s7, s[22:23], 0x18
	s_load_b64 s[8:9], s[22:23], 0x30
	s_waitcnt lgkmcnt(0)
	s_cmp_eq_u64 s[8:9], 0
	s_cbranch_scc0 .LBB46_5
.LBB46_7:
	s_load_b32 s12, s[22:23], 0x28
.LBB46_8:
	s_mul_i32 s8, s11, s10
	s_add_i32 s9, s11, 1
	s_sub_i32 s8, s24, s8
	v_and_b32_e32 v0, 15, v41
	s_sub_i32 s13, s8, s10
	s_cmp_ge_u32 s8, s10
	v_lshrrev_b32_e32 v2, 4, v41
	s_cselect_b32 s9, s9, s11
	s_cselect_b32 s8, s13, s8
	s_add_i32 s11, s9, 1
	s_cmp_ge_u32 s8, s10
	s_cselect_b32 s8, s11, s9
	s_delay_alu instid0(SALU_CYCLE_1) | instskip(NEXT) | instid1(SALU_CYCLE_1)
	s_mul_i32 s9, s8, s10
	s_sub_i32 s9, s24, s9
	s_delay_alu instid0(SALU_CYCLE_1) | instskip(SKIP_1) | instid1(VALU_DEP_2)
	v_lshl_or_b32 v1, s9, 4, v0
	v_lshl_add_u32 v0, s8, 4, v2
	v_cmp_gt_u32_e32 vcc_lo, s0, v1
	s_delay_alu instid0(VALU_DEP_2) | instskip(NEXT) | instid1(VALU_DEP_1)
	v_cmp_gt_u32_e64 s0, s1, v0
	s_and_b32 s0, vcc_lo, s0
	s_delay_alu instid0(SALU_CYCLE_1)
	s_and_saveexec_b32 s1, s0
	s_cbranch_execz .LBB46_14
; %bb.9:
	s_clause 0x1
	s_load_b128 s[8:11], s[22:23], 0x0
	s_load_b64 s[0:1], s[22:23], 0x10
	v_dual_mov_b32 v3, 0 :: v_dual_mov_b32 v2, 0
	s_mul_i32 s21, s21, s5
	s_waitcnt lgkmcnt(0)
	s_cmp_eq_u64 s[10:11], 0
	s_cbranch_scc1 .LBB46_11
; %bb.10:
	s_bitcmp1_b32 s6, 0
	v_mov_b32_e32 v5, 0
	s_cselect_b32 vcc_lo, -1, 0
	v_cndmask_b32_e32 v2, v0, v1, vcc_lo
	v_cndmask_b32_e32 v4, v1, v0, vcc_lo
	s_delay_alu instid0(VALU_DEP_2) | instskip(NEXT) | instid1(VALU_DEP_1)
	v_mul_lo_u32 v2, v2, s2
	v_add3_u32 v4, v4, s21, v2
	s_delay_alu instid0(VALU_DEP_1) | instskip(NEXT) | instid1(VALU_DEP_1)
	v_lshlrev_b64 v[4:5], 1, v[4:5]
	v_add_co_u32 v4, vcc_lo, s10, v4
	s_delay_alu instid0(VALU_DEP_2)
	v_add_co_ci_u32_e32 v5, vcc_lo, s11, v5, vcc_lo
	global_load_u16 v2, v[4:5], off
	s_waitcnt vmcnt(0)
	v_cvt_f32_f16_e32 v2, v2
.LBB46_11:
	s_cmp_eq_u64 s[0:1], 0
	s_cbranch_scc1 .LBB46_13
; %bb.12:
	s_load_b32 s2, s[22:23], 0x50
	v_mov_b32_e32 v4, 0
	s_waitcnt lgkmcnt(0)
	s_bitcmp1_b32 s2, 8
	s_cselect_b32 vcc_lo, -1, 0
	v_cndmask_b32_e32 v3, v0, v1, vcc_lo
	v_cndmask_b32_e32 v5, v1, v0, vcc_lo
	s_delay_alu instid0(VALU_DEP_2) | instskip(NEXT) | instid1(VALU_DEP_1)
	v_mul_lo_u32 v3, v3, s3
	v_add3_u32 v3, v5, s21, v3
	s_delay_alu instid0(VALU_DEP_1) | instskip(NEXT) | instid1(VALU_DEP_1)
	v_lshlrev_b64 v[3:4], 1, v[3:4]
	v_add_co_u32 v3, vcc_lo, s0, v3
	s_delay_alu instid0(VALU_DEP_2)
	v_add_co_ci_u32_e32 v4, vcc_lo, s1, v4, vcc_lo
	global_load_u16 v3, v[3:4], off
	s_waitcnt vmcnt(0)
	v_cvt_f32_f16_e32 v3, v3
.LBB46_13:
	v_mul_lo_u32 v4, v1, s4
	v_mov_b32_e32 v1, 0
	s_delay_alu instid0(VALU_DEP_3) | instskip(NEXT) | instid1(VALU_DEP_1)
	v_mul_f32_e32 v3, s12, v3
	v_fma_mixlo_f16 v2, s7, v2, v3
	s_delay_alu instid0(VALU_DEP_4) | instskip(NEXT) | instid1(VALU_DEP_1)
	v_add3_u32 v0, v0, s21, v4
	v_lshlrev_b64 v[0:1], 1, v[0:1]
	s_delay_alu instid0(VALU_DEP_1) | instskip(NEXT) | instid1(VALU_DEP_2)
	v_add_co_u32 v0, vcc_lo, s8, v0
	v_add_co_ci_u32_e32 v1, vcc_lo, s9, v1, vcc_lo
	global_store_b16 v[0:1], v2, off
.LBB46_14:
	s_endpgm
	.section	.rodata,"a",@progbits
	.p2align	6, 0x0
	.amdhsa_kernel Transform_H_S_001_16_16_VW_1
		.amdhsa_group_segment_fixed_size 0
		.amdhsa_private_segment_fixed_size 64
		.amdhsa_kernarg_size 344
		.amdhsa_user_sgpr_count 14
		.amdhsa_user_sgpr_dispatch_ptr 0
		.amdhsa_user_sgpr_queue_ptr 0
		.amdhsa_user_sgpr_kernarg_segment_ptr 1
		.amdhsa_user_sgpr_dispatch_id 0
		.amdhsa_user_sgpr_private_segment_size 0
		.amdhsa_wavefront_size32 1
		.amdhsa_uses_dynamic_stack 0
		.amdhsa_enable_private_segment 1
		.amdhsa_system_sgpr_workgroup_id_x 1
		.amdhsa_system_sgpr_workgroup_id_y 0
		.amdhsa_system_sgpr_workgroup_id_z 1
		.amdhsa_system_sgpr_workgroup_info 0
		.amdhsa_system_vgpr_workitem_id 0
		.amdhsa_next_free_vgpr 42
		.amdhsa_next_free_sgpr 34
		.amdhsa_reserve_vcc 1
		.amdhsa_float_round_mode_32 0
		.amdhsa_float_round_mode_16_64 0
		.amdhsa_float_denorm_mode_32 3
		.amdhsa_float_denorm_mode_16_64 3
		.amdhsa_dx10_clamp 1
		.amdhsa_ieee_mode 1
		.amdhsa_fp16_overflow 0
		.amdhsa_workgroup_processor_mode 1
		.amdhsa_memory_ordered 1
		.amdhsa_forward_progress 0
		.amdhsa_shared_vgpr_count 0
		.amdhsa_exception_fp_ieee_invalid_op 0
		.amdhsa_exception_fp_denorm_src 0
		.amdhsa_exception_fp_ieee_div_zero 0
		.amdhsa_exception_fp_ieee_overflow 0
		.amdhsa_exception_fp_ieee_underflow 0
		.amdhsa_exception_fp_ieee_inexact 0
		.amdhsa_exception_int_div_zero 0
	.end_amdhsa_kernel
	.text
.Lfunc_end46:
	.size	Transform_H_S_001_16_16_VW_1, .Lfunc_end46-Transform_H_S_001_16_16_VW_1
                                        ; -- End function
	.section	.AMDGPU.csdata,"",@progbits
; Kernel info:
; codeLenInByte = 764
; NumSgprs: 36
; NumVgprs: 42
; ScratchSize: 64
; MemoryBound: 0
; FloatMode: 240
; IeeeMode: 1
; LDSByteSize: 0 bytes/workgroup (compile time only)
; SGPRBlocks: 4
; VGPRBlocks: 5
; NumSGPRsForWavesPerEU: 36
; NumVGPRsForWavesPerEU: 42
; Occupancy: 16
; WaveLimiterHint : 1
; COMPUTE_PGM_RSRC2:SCRATCH_EN: 1
; COMPUTE_PGM_RSRC2:USER_SGPR: 14
; COMPUTE_PGM_RSRC2:TRAP_HANDLER: 0
; COMPUTE_PGM_RSRC2:TGID_X_EN: 1
; COMPUTE_PGM_RSRC2:TGID_Y_EN: 0
; COMPUTE_PGM_RSRC2:TGID_Z_EN: 1
; COMPUTE_PGM_RSRC2:TIDIG_COMP_CNT: 0
	.text
	.protected	Transform_H_S_001_16_16_VW_4 ; -- Begin function Transform_H_S_001_16_16_VW_4
	.globl	Transform_H_S_001_16_16_VW_4
	.p2align	8
	.type	Transform_H_S_001_16_16_VW_4,@function
Transform_H_S_001_16_16_VW_4:           ; @Transform_H_S_001_16_16_VW_4
; %bb.0:
	s_mov_b64 s[22:23], s[0:1]
	s_load_b32 s0, s[0:1], 0x64
	v_mov_b32_e32 v41, v0
	s_mov_b32 s24, s15
	s_mov_b32 s21, s14
	;; [unrolled: 1-line block ×3, first 2 shown]
	s_waitcnt lgkmcnt(0)
	v_cmp_eq_u16_e64 s0, 0x100, s0
	s_delay_alu instid0(VALU_DEP_1)
	s_and_b32 vcc_lo, exec_lo, s0
	s_mov_b32 s0, -1
	s_cbranch_vccnz .LBB47_2
; %bb.1:
	s_add_u32 s8, s22, 0x58
	s_addc_u32 s9, s23, 0
	s_getpc_b64 s[0:1]
	s_add_u32 s0, s0, __PRETTY_FUNCTION__._ZN10amd_detail9transformIDF16_fLb0ELb0ELb1ELj16ELj16ELj4EEEvPT_PKS1_S4_T0_PKS5_S5_S7_jjjjjjbb@rel32@lo+4
	s_addc_u32 s1, s1, __PRETTY_FUNCTION__._ZN10amd_detail9transformIDF16_fLb0ELb0ELb1ELj16ELj16ELj4EEEvPT_PKS1_S4_T0_PKS5_S5_S7_jjjjjjbb@rel32@hi+12
	s_delay_alu instid0(SALU_CYCLE_1) | instskip(SKIP_3) | instid1(SALU_CYCLE_1)
	v_dual_mov_b32 v0, s0 :: v_dual_mov_b32 v1, s1
	s_getpc_b64 s[2:3]
	s_add_u32 s2, s2, __assert_fail@rel32@lo+4
	s_addc_u32 s3, s3, __assert_fail@rel32@hi+12
	s_swappc_b64 s[30:31], s[2:3]
	; divergent unreachable
	s_mov_b32 s0, 0
.LBB47_2:
	s_delay_alu instid0(SALU_CYCLE_1)
	s_and_not1_b32 vcc_lo, exec_lo, s0
	s_cbranch_vccnz .LBB47_55
; %bb.3:
	s_load_b128 s[0:3], s[22:23], 0x38
	s_waitcnt lgkmcnt(0)
	s_and_b32 s4, s0, 15
	s_lshr_b32 s5, s0, 4
	s_cmp_lg_u32 s4, 0
	s_cselect_b32 s4, -1, 0
	s_delay_alu instid0(SALU_CYCLE_1) | instskip(SKIP_4) | instid1(VALU_DEP_1)
	s_cmp_lg_u32 s4, 0
	s_addc_u32 s6, s5, 0
	s_load_b64 s[4:5], s[22:23], 0x20
	v_cvt_f32_u32_e32 v0, s6
	s_sub_i32 s8, 0, s6
	v_rcp_iflag_f32_e32 v0, v0
	s_waitcnt_depctr 0xfff
	v_mul_f32_e32 v0, 0x4f7ffffe, v0
	s_delay_alu instid0(VALU_DEP_1) | instskip(NEXT) | instid1(VALU_DEP_1)
	v_cvt_u32_f32_e32 v0, v0
	v_readfirstlane_b32 s7, v0
	s_delay_alu instid0(VALU_DEP_1) | instskip(NEXT) | instid1(SALU_CYCLE_1)
	s_mul_i32 s8, s8, s7
	s_mul_hi_u32 s8, s7, s8
	s_delay_alu instid0(SALU_CYCLE_1)
	s_add_i32 s7, s7, s8
	s_waitcnt lgkmcnt(0)
	s_cmp_eq_u64 s[4:5], 0
	s_mul_hi_u32 s7, s21, s7
	s_cbranch_scc1 .LBB47_6
; %bb.4:
	s_load_b32 s15, s[4:5], 0x0
	s_load_b64 s[4:5], s[22:23], 0x30
	s_waitcnt lgkmcnt(0)
	s_cmp_eq_u64 s[4:5], 0
	s_cbranch_scc1 .LBB47_7
.LBB47_5:
	s_load_b32 s16, s[4:5], 0x0
	s_branch .LBB47_8
.LBB47_6:
	s_clause 0x1
	s_load_b32 s15, s[22:23], 0x18
	s_load_b64 s[4:5], s[22:23], 0x30
	s_waitcnt lgkmcnt(0)
	s_cmp_eq_u64 s[4:5], 0
	s_cbranch_scc0 .LBB47_5
.LBB47_7:
	s_load_b32 s16, s[22:23], 0x28
.LBB47_8:
	s_mul_i32 s4, s7, s6
	s_add_i32 s5, s7, 1
	s_sub_i32 s4, s21, s4
	v_and_b32_e32 v6, 15, v41
	s_sub_i32 s8, s4, s6
	s_cmp_ge_u32 s4, s6
	s_cselect_b32 s5, s5, s7
	s_cselect_b32 s4, s8, s4
	s_add_i32 s7, s5, 1
	s_cmp_ge_u32 s4, s6
	s_cselect_b32 s12, s7, s5
	s_delay_alu instid0(SALU_CYCLE_1) | instskip(NEXT) | instid1(SALU_CYCLE_1)
	s_mul_i32 s14, s12, s6
	s_sub_i32 s4, s21, s14
	s_delay_alu instid0(SALU_CYCLE_1) | instskip(NEXT) | instid1(VALU_DEP_1)
	v_lshl_or_b32 v2, s4, 4, v6
	v_cmp_gt_u32_e32 vcc_lo, s0, v2
	s_and_saveexec_b32 s0, vcc_lo
	s_cbranch_execz .LBB47_55
; %bb.9:
	v_lshrrev_b32_e32 v0, 2, v41
	s_clause 0x1
	s_load_b128 s[8:11], s[22:23], 0x48
	s_load_b128 s[4:7], s[22:23], 0x0
	s_waitcnt lgkmcnt(0)
	s_lshl_b32 s11, s12, 6
	s_load_b64 s[12:13], s[22:23], 0x10
	v_dual_mov_b32 v10, 0 :: v_dual_and_b32 v7, 0xfc, v0
	v_mov_b32_e32 v9, 0
	s_delay_alu instid0(VALU_DEP_2) | instskip(NEXT) | instid1(VALU_DEP_1)
	v_add_nc_u32_e32 v1, s11, v7
	v_add_nc_u32_e32 v8, 4, v1
	v_mad_u64_u32 v[3:4], null, v2, s2, v[1:2]
	s_bitcmp1_b32 s10, 0
	s_delay_alu instid0(VALU_DEP_2)
	v_sub_nc_u32_e64 v0, v8, s1 clamp
	s_cselect_b32 vcc_lo, -1, 0
	s_cmp_lg_u64 s[6:7], 0
	s_mul_i32 s24, s24, s9
	s_cselect_b32 s10, -1, 0
	v_sub_nc_u32_e32 v13, v1, v0
	v_sub_nc_u32_e32 v11, v3, v0
	s_cmp_eq_u64 s[6:7], 0
	s_cbranch_scc1 .LBB47_11
; %bb.10:
	s_delay_alu instid0(VALU_DEP_2) | instskip(NEXT) | instid1(VALU_DEP_1)
	v_mad_u64_u32 v[3:4], null, v13, s2, v[2:3]
	v_dual_mov_b32 v4, 0 :: v_dual_cndmask_b32 v3, v3, v11
	s_delay_alu instid0(VALU_DEP_1) | instskip(NEXT) | instid1(VALU_DEP_1)
	v_add_nc_u32_e32 v3, s24, v3
	v_lshlrev_b64 v[3:4], 1, v[3:4]
	s_delay_alu instid0(VALU_DEP_1) | instskip(NEXT) | instid1(VALU_DEP_1)
	v_add_co_u32 v3, s0, s6, v3
	v_add_co_ci_u32_e64 v4, s0, s7, v4, s0
	global_load_u16 v3, v[3:4], off
	s_waitcnt vmcnt(0)
	v_cvt_f32_f16_e32 v9, v3
.LBB47_11:
	s_load_b32 s0, s[22:23], 0x50
	v_mad_u64_u32 v[3:4], null, v2, s3, v[1:2]
	s_xor_b32 s17, vcc_lo, -1
	s_delay_alu instid0(VALU_DEP_1)
	v_sub_nc_u32_e32 v12, v3, v0
	s_waitcnt lgkmcnt(0)
	s_bitcmp1_b32 s0, 8
	s_cselect_b32 s0, -1, 0
	s_cmp_lg_u64 s[12:13], 0
	s_cselect_b32 s9, -1, 0
	s_cmp_eq_u64 s[12:13], 0
	s_cbranch_scc1 .LBB47_13
; %bb.12:
	v_mad_u64_u32 v[3:4], null, v13, s3, v[2:3]
	s_delay_alu instid0(VALU_DEP_1) | instskip(NEXT) | instid1(VALU_DEP_1)
	v_cndmask_b32_e64 v3, v3, v12, s0
	v_dual_mov_b32 v4, 0 :: v_dual_add_nc_u32 v3, s24, v3
	s_delay_alu instid0(VALU_DEP_1) | instskip(NEXT) | instid1(VALU_DEP_1)
	v_lshlrev_b64 v[3:4], 1, v[3:4]
	v_add_co_u32 v3, vcc_lo, s12, v3
	s_delay_alu instid0(VALU_DEP_2)
	v_add_co_ci_u32_e32 v4, vcc_lo, s13, v4, vcc_lo
	global_load_u16 v3, v[3:4], off
	s_waitcnt vmcnt(0)
	v_cvt_f32_f16_e32 v10, v3
.LBB47_13:
	v_cndmask_b32_e64 v16, 0, 1, s17
	s_and_not1_b32 vcc_lo, exec_lo, s17
	s_cbranch_vccnz .LBB47_15
; %bb.14:
	v_mul_lo_u32 v3, s2, v13
	s_delay_alu instid0(VALU_DEP_1)
	v_add3_u32 v3, v3, s2, v2
	s_xor_b32 s0, s0, -1
	s_cbranch_execz .LBB47_16
	s_branch .LBB47_17
.LBB47_15:
                                        ; implicit-def: $vgpr3
	s_xor_b32 s0, s0, -1
.LBB47_16:
	v_add_nc_u32_e32 v3, 1, v11
.LBB47_17:
	v_cndmask_b32_e64 v17, 0, 1, s0
	s_and_not1_b32 vcc_lo, exec_lo, s0
	s_cbranch_vccnz .LBB47_19
; %bb.18:
	v_mul_lo_u32 v4, s3, v13
	s_delay_alu instid0(VALU_DEP_1)
	v_add3_u32 v4, v4, s3, v2
	s_cbranch_execz .LBB47_20
	s_branch .LBB47_21
.LBB47_19:
                                        ; implicit-def: $vgpr4
.LBB47_20:
	v_add_nc_u32_e32 v4, 1, v12
.LBB47_21:
	v_cndmask_b32_e64 v18, 0, 1, s10
	v_dual_mov_b32 v15, 0 :: v_dual_mov_b32 v14, 0
	s_and_not1_b32 vcc_lo, exec_lo, s10
	s_cbranch_vccnz .LBB47_23
; %bb.22:
	v_dual_mov_b32 v20, 0 :: v_dual_add_nc_u32 v19, s24, v3
	s_delay_alu instid0(VALU_DEP_1) | instskip(NEXT) | instid1(VALU_DEP_1)
	v_lshlrev_b64 v[19:20], 1, v[19:20]
	v_add_co_u32 v19, vcc_lo, s6, v19
	s_delay_alu instid0(VALU_DEP_2)
	v_add_co_ci_u32_e32 v20, vcc_lo, s7, v20, vcc_lo
	global_load_u16 v3, v[19:20], off
	s_waitcnt vmcnt(0)
	v_cvt_f32_f16_e32 v14, v3
.LBB47_23:
	v_cndmask_b32_e64 v19, 0, 1, s9
	s_and_not1_b32 vcc_lo, exec_lo, s9
	s_cbranch_vccnz .LBB47_25
; %bb.24:
	v_dual_mov_b32 v4, 0 :: v_dual_add_nc_u32 v3, s24, v4
	s_delay_alu instid0(VALU_DEP_1) | instskip(NEXT) | instid1(VALU_DEP_1)
	v_lshlrev_b64 v[3:4], 1, v[3:4]
	v_add_co_u32 v3, vcc_lo, s12, v3
	s_delay_alu instid0(VALU_DEP_2)
	v_add_co_ci_u32_e32 v4, vcc_lo, s13, v4, vcc_lo
	global_load_u16 v3, v[3:4], off
	s_waitcnt vmcnt(0)
	v_cvt_f32_f16_e32 v15, v3
.LBB47_25:
	v_cmp_ne_u32_e32 vcc_lo, 1, v16
	v_add_nc_u32_e32 v20, 2, v13
	s_cbranch_vccnz .LBB47_27
; %bb.26:
	s_delay_alu instid0(VALU_DEP_1)
	v_mad_u64_u32 v[3:4], null, v20, s2, v[2:3]
	s_cbranch_execz .LBB47_28
	s_branch .LBB47_29
.LBB47_27:
                                        ; implicit-def: $vgpr3
.LBB47_28:
	v_add_nc_u32_e32 v3, 2, v11
.LBB47_29:
	v_cmp_ne_u32_e32 vcc_lo, 1, v17
	s_cbranch_vccnz .LBB47_31
; %bb.30:
	s_delay_alu instid0(VALU_DEP_2)
	v_mad_u64_u32 v[4:5], null, v20, s3, v[2:3]
	s_cbranch_execz .LBB47_32
	s_branch .LBB47_33
.LBB47_31:
                                        ; implicit-def: $vgpr4
.LBB47_32:
	v_add_nc_u32_e32 v4, 2, v12
.LBB47_33:
	v_cmp_ne_u32_e32 vcc_lo, 1, v18
	v_dual_mov_b32 v21, 0 :: v_dual_mov_b32 v20, 0
	s_cbranch_vccnz .LBB47_35
; %bb.34:
	v_dual_mov_b32 v23, 0 :: v_dual_add_nc_u32 v22, s24, v3
	s_delay_alu instid0(VALU_DEP_1) | instskip(NEXT) | instid1(VALU_DEP_1)
	v_lshlrev_b64 v[22:23], 1, v[22:23]
	v_add_co_u32 v22, vcc_lo, s6, v22
	s_delay_alu instid0(VALU_DEP_2)
	v_add_co_ci_u32_e32 v23, vcc_lo, s7, v23, vcc_lo
	global_load_u16 v3, v[22:23], off
	s_waitcnt vmcnt(0)
	v_cvt_f32_f16_e32 v20, v3
.LBB47_35:
	v_cmp_ne_u32_e32 vcc_lo, 1, v19
	s_cbranch_vccnz .LBB47_37
; %bb.36:
	v_dual_mov_b32 v4, 0 :: v_dual_add_nc_u32 v3, s24, v4
	s_delay_alu instid0(VALU_DEP_1) | instskip(NEXT) | instid1(VALU_DEP_1)
	v_lshlrev_b64 v[3:4], 1, v[3:4]
	v_add_co_u32 v3, vcc_lo, s12, v3
	s_delay_alu instid0(VALU_DEP_2)
	v_add_co_ci_u32_e32 v4, vcc_lo, s13, v4, vcc_lo
	global_load_u16 v3, v[3:4], off
	s_waitcnt vmcnt(0)
	v_cvt_f32_f16_e32 v21, v3
.LBB47_37:
	v_cmp_ne_u32_e32 vcc_lo, 1, v16
	v_add_nc_u32_e32 v13, 3, v13
	s_cbranch_vccnz .LBB47_39
; %bb.38:
	s_delay_alu instid0(VALU_DEP_1)
	v_mad_u64_u32 v[3:4], null, v13, s2, v[2:3]
	s_cbranch_execz .LBB47_40
	s_branch .LBB47_41
.LBB47_39:
                                        ; implicit-def: $vgpr3
.LBB47_40:
	v_add_nc_u32_e32 v3, 3, v11
.LBB47_41:
	v_cmp_ne_u32_e32 vcc_lo, 1, v17
	s_cbranch_vccnz .LBB47_43
; %bb.42:
	s_delay_alu instid0(VALU_DEP_2)
	v_mad_u64_u32 v[4:5], null, v13, s3, v[2:3]
	s_cbranch_execz .LBB47_44
	s_branch .LBB47_45
.LBB47_43:
                                        ; implicit-def: $vgpr4
.LBB47_44:
	v_add_nc_u32_e32 v4, 3, v12
.LBB47_45:
	v_cmp_ne_u32_e32 vcc_lo, 1, v18
	v_mov_b32_e32 v5, 0
	v_mov_b32_e32 v11, 0
	s_cbranch_vccnz .LBB47_47
; %bb.46:
	v_dual_mov_b32 v12, 0 :: v_dual_add_nc_u32 v11, s24, v3
	s_delay_alu instid0(VALU_DEP_1) | instskip(NEXT) | instid1(VALU_DEP_1)
	v_lshlrev_b64 v[11:12], 1, v[11:12]
	v_add_co_u32 v11, vcc_lo, s6, v11
	s_delay_alu instid0(VALU_DEP_2)
	v_add_co_ci_u32_e32 v12, vcc_lo, s7, v12, vcc_lo
	global_load_u16 v3, v[11:12], off
	s_waitcnt vmcnt(0)
	v_cvt_f32_f16_e32 v11, v3
.LBB47_47:
	v_cmp_ne_u32_e32 vcc_lo, 1, v19
	s_cbranch_vccnz .LBB47_49
; %bb.48:
	v_dual_mov_b32 v4, 0 :: v_dual_add_nc_u32 v3, s24, v4
	s_delay_alu instid0(VALU_DEP_1) | instskip(NEXT) | instid1(VALU_DEP_1)
	v_lshlrev_b64 v[3:4], 1, v[3:4]
	v_add_co_u32 v3, vcc_lo, s12, v3
	s_delay_alu instid0(VALU_DEP_2)
	v_add_co_ci_u32_e32 v4, vcc_lo, s13, v4, vcc_lo
	global_load_u16 v3, v[3:4], off
	s_waitcnt vmcnt(0)
	v_cvt_f32_f16_e32 v5, v3
.LBB47_49:
	v_dual_mul_f32 v3, s16, v10 :: v_dual_mul_f32 v10, s16, v15
	v_mul_f32_e32 v12, s16, v21
	s_delay_alu instid0(VALU_DEP_3) | instskip(SKIP_1) | instid1(VALU_DEP_3)
	v_mul_f32_e32 v13, s16, v5
	s_mov_b32 s0, exec_lo
	v_fma_mixlo_f16 v4, s15, v9, v3
	v_fma_mixlo_f16 v5, s15, v14, v10
	;; [unrolled: 1-line block ×4, first 2 shown]
	v_cmpx_ge_u32_e64 s1, v8
	s_xor_b32 s0, exec_lo, s0
	s_cbranch_execz .LBB47_51
; %bb.50:
	v_mul_lo_u32 v2, v2, s8
                                        ; implicit-def: $vgpr8
	s_delay_alu instid0(VALU_DEP_1) | instskip(NEXT) | instid1(VALU_DEP_1)
	v_add3_u32 v2, v1, s24, v2
	v_sub_nc_u32_e32 v0, v2, v0
	s_delay_alu instid0(VALU_DEP_1) | instskip(NEXT) | instid1(VALU_DEP_1)
	v_dual_mov_b32 v1, 0 :: v_dual_add_nc_u32 v6, 1, v0
	v_dual_mov_b32 v7, v1 :: v_dual_add_nc_u32 v10, 2, v0
	v_lshlrev_b64 v[12:13], 1, v[0:1]
	v_dual_mov_b32 v11, v1 :: v_dual_add_nc_u32 v0, 3, v0
	s_delay_alu instid0(VALU_DEP_3) | instskip(NEXT) | instid1(VALU_DEP_2)
	v_lshlrev_b64 v[6:7], 1, v[6:7]
	v_lshlrev_b64 v[10:11], 1, v[10:11]
	s_delay_alu instid0(VALU_DEP_4)
	v_add_co_u32 v12, vcc_lo, s4, v12
	v_add_co_ci_u32_e32 v13, vcc_lo, s5, v13, vcc_lo
	v_lshlrev_b64 v[0:1], 1, v[0:1]
	v_add_co_u32 v6, vcc_lo, s4, v6
	v_add_co_ci_u32_e32 v7, vcc_lo, s5, v7, vcc_lo
	v_add_co_u32 v10, vcc_lo, s4, v10
	v_add_co_ci_u32_e32 v11, vcc_lo, s5, v11, vcc_lo
	;; [unrolled: 2-line block ×3, first 2 shown]
	s_clause 0x3
	global_store_b16 v[12:13], v4, off
	global_store_b16 v[6:7], v5, off
	;; [unrolled: 1-line block ×4, first 2 shown]
                                        ; implicit-def: $vgpr6
                                        ; implicit-def: $vgpr7
                                        ; implicit-def: $vgpr1
                                        ; implicit-def: $vgpr0
                                        ; implicit-def: $vgpr4
                                        ; implicit-def: $vgpr5
                                        ; implicit-def: $vgpr9
                                        ; implicit-def: $vgpr3
.LBB47_51:
	s_and_not1_saveexec_b32 s0, s0
	s_cbranch_execz .LBB47_55
; %bb.52:
	v_cmp_gt_u32_e32 vcc_lo, 4, v0
	s_and_b32 exec_lo, exec_lo, vcc_lo
	s_cbranch_execz .LBB47_55
; %bb.53:
	v_lshl_or_b32 v2, s21, 4, v6
	s_lshl_b32 s0, s14, 4
	v_min_u32_e32 v6, s1, v8
	s_add_i32 s11, s11, s24
	v_perm_b32 v3, v3, v9, 0x5040100
	v_subrev_nc_u32_e32 v2, s0, v2
	s_mov_b32 s2, 0
	v_sub_nc_u32_e32 v6, v1, v6
	v_mov_b32_e32 v1, 0
	s_delay_alu instid0(VALU_DEP_3) | instskip(NEXT) | instid1(VALU_DEP_3)
	v_mul_lo_u32 v2, s8, v2
	v_add_nc_u32_e32 v6, 3, v6
	s_delay_alu instid0(VALU_DEP_2) | instskip(SKIP_2) | instid1(VALU_DEP_3)
	v_add3_u32 v7, s11, v2, v7
	v_perm_b32 v2, v5, v4, 0x5040100
	v_dual_mov_b32 v5, v1 :: v_dual_mov_b32 v4, v0
	v_mov_b32_e32 v0, v7
	.p2align	6
.LBB47_54:                              ; =>This Inner Loop Header: Depth=1
	s_delay_alu instid0(VALU_DEP_1) | instskip(SKIP_1) | instid1(VALU_DEP_4)
	v_lshlrev_b64 v[7:8], 1, v[0:1]
	v_add_nc_u32_e32 v6, 1, v6
	v_lshlrev_b32_e32 v9, 4, v4
	v_add_co_u32 v4, vcc_lo, v4, 1
	v_add_nc_u32_e32 v0, 1, v0
	s_delay_alu instid0(VALU_DEP_4)
	v_cmp_lt_u32_e64 s0, 2, v6
	v_add_co_u32 v7, s1, s4, v7
	v_lshrrev_b64 v[9:10], v9, v[2:3]
	v_add_co_ci_u32_e64 v8, s1, s5, v8, s1
	v_add_co_ci_u32_e32 v5, vcc_lo, 0, v5, vcc_lo
	s_or_b32 s2, s0, s2
	global_store_b16 v[7:8], v9, off
	s_and_not1_b32 exec_lo, exec_lo, s2
	s_cbranch_execnz .LBB47_54
.LBB47_55:
	s_endpgm
	.section	.rodata,"a",@progbits
	.p2align	6, 0x0
	.amdhsa_kernel Transform_H_S_001_16_16_VW_4
		.amdhsa_group_segment_fixed_size 0
		.amdhsa_private_segment_fixed_size 64
		.amdhsa_kernarg_size 344
		.amdhsa_user_sgpr_count 14
		.amdhsa_user_sgpr_dispatch_ptr 0
		.amdhsa_user_sgpr_queue_ptr 0
		.amdhsa_user_sgpr_kernarg_segment_ptr 1
		.amdhsa_user_sgpr_dispatch_id 0
		.amdhsa_user_sgpr_private_segment_size 0
		.amdhsa_wavefront_size32 1
		.amdhsa_uses_dynamic_stack 0
		.amdhsa_enable_private_segment 1
		.amdhsa_system_sgpr_workgroup_id_x 1
		.amdhsa_system_sgpr_workgroup_id_y 0
		.amdhsa_system_sgpr_workgroup_id_z 1
		.amdhsa_system_sgpr_workgroup_info 0
		.amdhsa_system_vgpr_workitem_id 0
		.amdhsa_next_free_vgpr 42
		.amdhsa_next_free_sgpr 34
		.amdhsa_reserve_vcc 1
		.amdhsa_float_round_mode_32 0
		.amdhsa_float_round_mode_16_64 0
		.amdhsa_float_denorm_mode_32 3
		.amdhsa_float_denorm_mode_16_64 3
		.amdhsa_dx10_clamp 1
		.amdhsa_ieee_mode 1
		.amdhsa_fp16_overflow 0
		.amdhsa_workgroup_processor_mode 1
		.amdhsa_memory_ordered 1
		.amdhsa_forward_progress 0
		.amdhsa_shared_vgpr_count 0
		.amdhsa_exception_fp_ieee_invalid_op 0
		.amdhsa_exception_fp_denorm_src 0
		.amdhsa_exception_fp_ieee_div_zero 0
		.amdhsa_exception_fp_ieee_overflow 0
		.amdhsa_exception_fp_ieee_underflow 0
		.amdhsa_exception_fp_ieee_inexact 0
		.amdhsa_exception_int_div_zero 0
	.end_amdhsa_kernel
	.text
.Lfunc_end47:
	.size	Transform_H_S_001_16_16_VW_4, .Lfunc_end47-Transform_H_S_001_16_16_VW_4
                                        ; -- End function
	.section	.AMDGPU.csdata,"",@progbits
; Kernel info:
; codeLenInByte = 1852
; NumSgprs: 36
; NumVgprs: 42
; ScratchSize: 64
; MemoryBound: 0
; FloatMode: 240
; IeeeMode: 1
; LDSByteSize: 0 bytes/workgroup (compile time only)
; SGPRBlocks: 4
; VGPRBlocks: 5
; NumSGPRsForWavesPerEU: 36
; NumVGPRsForWavesPerEU: 42
; Occupancy: 16
; WaveLimiterHint : 1
; COMPUTE_PGM_RSRC2:SCRATCH_EN: 1
; COMPUTE_PGM_RSRC2:USER_SGPR: 14
; COMPUTE_PGM_RSRC2:TRAP_HANDLER: 0
; COMPUTE_PGM_RSRC2:TGID_X_EN: 1
; COMPUTE_PGM_RSRC2:TGID_Y_EN: 0
; COMPUTE_PGM_RSRC2:TGID_Z_EN: 1
; COMPUTE_PGM_RSRC2:TIDIG_COMP_CNT: 0
	.text
	.protected	Transform_H_S_000_16_16_VW_1 ; -- Begin function Transform_H_S_000_16_16_VW_1
	.globl	Transform_H_S_000_16_16_VW_1
	.p2align	8
	.type	Transform_H_S_000_16_16_VW_1,@function
Transform_H_S_000_16_16_VW_1:           ; @Transform_H_S_000_16_16_VW_1
; %bb.0:
	s_mov_b64 s[22:23], s[0:1]
	s_load_b32 s0, s[0:1], 0x64
	v_mov_b32_e32 v41, v0
	s_mov_b32 s21, s15
	s_mov_b32 s24, s14
	;; [unrolled: 1-line block ×3, first 2 shown]
	s_waitcnt lgkmcnt(0)
	v_cmp_eq_u16_e64 s0, 0x100, s0
	s_delay_alu instid0(VALU_DEP_1)
	s_and_b32 vcc_lo, exec_lo, s0
	s_mov_b32 s0, -1
	s_cbranch_vccnz .LBB48_2
; %bb.1:
	s_add_u32 s8, s22, 0x58
	s_addc_u32 s9, s23, 0
	s_getpc_b64 s[0:1]
	s_add_u32 s0, s0, __PRETTY_FUNCTION__._ZN10amd_detail9transformIDF16_fLb0ELb0ELb0ELj16ELj16ELj1EEEvPT_PKS1_S4_T0_PKS5_S5_S7_jjjjjjbb@rel32@lo+4
	s_addc_u32 s1, s1, __PRETTY_FUNCTION__._ZN10amd_detail9transformIDF16_fLb0ELb0ELb0ELj16ELj16ELj1EEEvPT_PKS1_S4_T0_PKS5_S5_S7_jjjjjjbb@rel32@hi+12
	s_delay_alu instid0(SALU_CYCLE_1) | instskip(SKIP_3) | instid1(SALU_CYCLE_1)
	v_dual_mov_b32 v0, s0 :: v_dual_mov_b32 v1, s1
	s_getpc_b64 s[2:3]
	s_add_u32 s2, s2, __assert_fail@rel32@lo+4
	s_addc_u32 s3, s3, __assert_fail@rel32@hi+12
	s_swappc_b64 s[30:31], s[2:3]
	; divergent unreachable
	s_mov_b32 s0, 0
.LBB48_2:
	s_delay_alu instid0(SALU_CYCLE_1)
	s_and_not1_b32 vcc_lo, exec_lo, s0
	s_cbranch_vccnz .LBB48_14
; %bb.3:
	s_load_b256 s[0:7], s[22:23], 0x38
	s_waitcnt lgkmcnt(0)
	s_and_b32 s7, s0, 15
	s_lshr_b32 s8, s0, 4
	s_cmp_lg_u32 s7, 0
	s_cselect_b32 s7, -1, 0
	s_delay_alu instid0(SALU_CYCLE_1) | instskip(SKIP_4) | instid1(VALU_DEP_1)
	s_cmp_lg_u32 s7, 0
	s_addc_u32 s10, s8, 0
	s_load_b64 s[8:9], s[22:23], 0x20
	v_cvt_f32_u32_e32 v0, s10
	s_sub_i32 s11, 0, s10
	v_rcp_iflag_f32_e32 v0, v0
	s_waitcnt_depctr 0xfff
	v_mul_f32_e32 v0, 0x4f7ffffe, v0
	s_delay_alu instid0(VALU_DEP_1) | instskip(NEXT) | instid1(VALU_DEP_1)
	v_cvt_u32_f32_e32 v0, v0
	v_readfirstlane_b32 s7, v0
	s_delay_alu instid0(VALU_DEP_1) | instskip(NEXT) | instid1(SALU_CYCLE_1)
	s_mul_i32 s11, s11, s7
	s_mul_hi_u32 s11, s7, s11
	s_delay_alu instid0(SALU_CYCLE_1)
	s_add_i32 s7, s7, s11
	s_waitcnt lgkmcnt(0)
	s_cmp_eq_u64 s[8:9], 0
	s_mul_hi_u32 s11, s24, s7
	s_cbranch_scc1 .LBB48_6
; %bb.4:
	s_load_b32 s7, s[8:9], 0x0
	s_load_b64 s[8:9], s[22:23], 0x30
	s_waitcnt lgkmcnt(0)
	s_cmp_eq_u64 s[8:9], 0
	s_cbranch_scc1 .LBB48_7
.LBB48_5:
	s_load_b32 s12, s[8:9], 0x0
	s_branch .LBB48_8
.LBB48_6:
	s_clause 0x1
	s_load_b32 s7, s[22:23], 0x18
	s_load_b64 s[8:9], s[22:23], 0x30
	s_waitcnt lgkmcnt(0)
	s_cmp_eq_u64 s[8:9], 0
	s_cbranch_scc0 .LBB48_5
.LBB48_7:
	s_load_b32 s12, s[22:23], 0x28
.LBB48_8:
	s_mul_i32 s8, s11, s10
	s_add_i32 s9, s11, 1
	s_sub_i32 s8, s24, s8
	v_and_b32_e32 v0, 15, v41
	s_sub_i32 s13, s8, s10
	s_cmp_ge_u32 s8, s10
	v_lshrrev_b32_e32 v1, 4, v41
	s_cselect_b32 s9, s9, s11
	s_cselect_b32 s8, s13, s8
	s_add_i32 s11, s9, 1
	s_cmp_ge_u32 s8, s10
	s_cselect_b32 s8, s11, s9
	s_delay_alu instid0(SALU_CYCLE_1) | instskip(SKIP_2) | instid1(SALU_CYCLE_1)
	s_mul_i32 s9, s8, s10
	v_lshl_add_u32 v1, s8, 4, v1
	s_sub_i32 s9, s24, s9
	v_lshl_or_b32 v0, s9, 4, v0
	s_delay_alu instid0(VALU_DEP_1) | instskip(NEXT) | instid1(VALU_DEP_3)
	v_cmp_gt_u32_e32 vcc_lo, s0, v0
	v_cmp_gt_u32_e64 s0, s1, v1
	s_delay_alu instid0(VALU_DEP_1) | instskip(NEXT) | instid1(SALU_CYCLE_1)
	s_and_b32 s0, vcc_lo, s0
	s_and_saveexec_b32 s1, s0
	s_cbranch_execz .LBB48_14
; %bb.9:
	s_clause 0x1
	s_load_b128 s[8:11], s[22:23], 0x0
	s_load_b64 s[0:1], s[22:23], 0x10
	v_dual_mov_b32 v3, 0 :: v_dual_mov_b32 v2, 0
	s_mul_i32 s21, s21, s5
	s_waitcnt lgkmcnt(0)
	s_cmp_eq_u64 s[10:11], 0
	s_cbranch_scc1 .LBB48_11
; %bb.10:
	s_bitcmp1_b32 s6, 0
	v_mov_b32_e32 v5, 0
	s_cselect_b32 vcc_lo, -1, 0
	v_cndmask_b32_e32 v2, v1, v0, vcc_lo
	v_cndmask_b32_e32 v4, v0, v1, vcc_lo
	s_delay_alu instid0(VALU_DEP_2) | instskip(NEXT) | instid1(VALU_DEP_1)
	v_mul_lo_u32 v2, v2, s2
	v_add3_u32 v4, v4, s21, v2
	s_delay_alu instid0(VALU_DEP_1) | instskip(NEXT) | instid1(VALU_DEP_1)
	v_lshlrev_b64 v[4:5], 1, v[4:5]
	v_add_co_u32 v4, vcc_lo, s10, v4
	s_delay_alu instid0(VALU_DEP_2)
	v_add_co_ci_u32_e32 v5, vcc_lo, s11, v5, vcc_lo
	global_load_u16 v2, v[4:5], off
	s_waitcnt vmcnt(0)
	v_cvt_f32_f16_e32 v2, v2
.LBB48_11:
	s_cmp_eq_u64 s[0:1], 0
	s_cbranch_scc1 .LBB48_13
; %bb.12:
	s_load_b32 s2, s[22:23], 0x50
	v_mov_b32_e32 v4, 0
	s_waitcnt lgkmcnt(0)
	s_bitcmp1_b32 s2, 8
	s_cselect_b32 vcc_lo, -1, 0
	v_cndmask_b32_e32 v3, v1, v0, vcc_lo
	v_cndmask_b32_e32 v5, v0, v1, vcc_lo
	s_delay_alu instid0(VALU_DEP_2) | instskip(NEXT) | instid1(VALU_DEP_1)
	v_mul_lo_u32 v3, v3, s3
	v_add3_u32 v3, v5, s21, v3
	s_delay_alu instid0(VALU_DEP_1) | instskip(NEXT) | instid1(VALU_DEP_1)
	v_lshlrev_b64 v[3:4], 1, v[3:4]
	v_add_co_u32 v3, vcc_lo, s0, v3
	s_delay_alu instid0(VALU_DEP_2)
	v_add_co_ci_u32_e32 v4, vcc_lo, s1, v4, vcc_lo
	global_load_u16 v3, v[3:4], off
	s_waitcnt vmcnt(0)
	v_cvt_f32_f16_e32 v3, v3
.LBB48_13:
	v_mul_lo_u32 v4, v1, s4
	v_mov_b32_e32 v1, 0
	s_delay_alu instid0(VALU_DEP_3) | instskip(NEXT) | instid1(VALU_DEP_1)
	v_mul_f32_e32 v3, s12, v3
	v_fma_mixlo_f16 v2, s7, v2, v3
	s_delay_alu instid0(VALU_DEP_4) | instskip(NEXT) | instid1(VALU_DEP_1)
	v_add3_u32 v0, v0, s21, v4
	v_lshlrev_b64 v[0:1], 1, v[0:1]
	s_delay_alu instid0(VALU_DEP_1) | instskip(NEXT) | instid1(VALU_DEP_2)
	v_add_co_u32 v0, vcc_lo, s8, v0
	v_add_co_ci_u32_e32 v1, vcc_lo, s9, v1, vcc_lo
	global_store_b16 v[0:1], v2, off
.LBB48_14:
	s_endpgm
	.section	.rodata,"a",@progbits
	.p2align	6, 0x0
	.amdhsa_kernel Transform_H_S_000_16_16_VW_1
		.amdhsa_group_segment_fixed_size 0
		.amdhsa_private_segment_fixed_size 64
		.amdhsa_kernarg_size 344
		.amdhsa_user_sgpr_count 14
		.amdhsa_user_sgpr_dispatch_ptr 0
		.amdhsa_user_sgpr_queue_ptr 0
		.amdhsa_user_sgpr_kernarg_segment_ptr 1
		.amdhsa_user_sgpr_dispatch_id 0
		.amdhsa_user_sgpr_private_segment_size 0
		.amdhsa_wavefront_size32 1
		.amdhsa_uses_dynamic_stack 0
		.amdhsa_enable_private_segment 1
		.amdhsa_system_sgpr_workgroup_id_x 1
		.amdhsa_system_sgpr_workgroup_id_y 0
		.amdhsa_system_sgpr_workgroup_id_z 1
		.amdhsa_system_sgpr_workgroup_info 0
		.amdhsa_system_vgpr_workitem_id 0
		.amdhsa_next_free_vgpr 42
		.amdhsa_next_free_sgpr 34
		.amdhsa_reserve_vcc 1
		.amdhsa_float_round_mode_32 0
		.amdhsa_float_round_mode_16_64 0
		.amdhsa_float_denorm_mode_32 3
		.amdhsa_float_denorm_mode_16_64 3
		.amdhsa_dx10_clamp 1
		.amdhsa_ieee_mode 1
		.amdhsa_fp16_overflow 0
		.amdhsa_workgroup_processor_mode 1
		.amdhsa_memory_ordered 1
		.amdhsa_forward_progress 0
		.amdhsa_shared_vgpr_count 0
		.amdhsa_exception_fp_ieee_invalid_op 0
		.amdhsa_exception_fp_denorm_src 0
		.amdhsa_exception_fp_ieee_div_zero 0
		.amdhsa_exception_fp_ieee_overflow 0
		.amdhsa_exception_fp_ieee_underflow 0
		.amdhsa_exception_fp_ieee_inexact 0
		.amdhsa_exception_int_div_zero 0
	.end_amdhsa_kernel
	.text
.Lfunc_end48:
	.size	Transform_H_S_000_16_16_VW_1, .Lfunc_end48-Transform_H_S_000_16_16_VW_1
                                        ; -- End function
	.section	.AMDGPU.csdata,"",@progbits
; Kernel info:
; codeLenInByte = 760
; NumSgprs: 36
; NumVgprs: 42
; ScratchSize: 64
; MemoryBound: 0
; FloatMode: 240
; IeeeMode: 1
; LDSByteSize: 0 bytes/workgroup (compile time only)
; SGPRBlocks: 4
; VGPRBlocks: 5
; NumSGPRsForWavesPerEU: 36
; NumVGPRsForWavesPerEU: 42
; Occupancy: 16
; WaveLimiterHint : 1
; COMPUTE_PGM_RSRC2:SCRATCH_EN: 1
; COMPUTE_PGM_RSRC2:USER_SGPR: 14
; COMPUTE_PGM_RSRC2:TRAP_HANDLER: 0
; COMPUTE_PGM_RSRC2:TGID_X_EN: 1
; COMPUTE_PGM_RSRC2:TGID_Y_EN: 0
; COMPUTE_PGM_RSRC2:TGID_Z_EN: 1
; COMPUTE_PGM_RSRC2:TIDIG_COMP_CNT: 0
	.text
	.protected	Transform_H_S_000_16_16_VW_4 ; -- Begin function Transform_H_S_000_16_16_VW_4
	.globl	Transform_H_S_000_16_16_VW_4
	.p2align	8
	.type	Transform_H_S_000_16_16_VW_4,@function
Transform_H_S_000_16_16_VW_4:           ; @Transform_H_S_000_16_16_VW_4
; %bb.0:
	s_mov_b64 s[22:23], s[0:1]
	s_load_b32 s0, s[0:1], 0x64
	v_mov_b32_e32 v41, v0
	s_mov_b32 s24, s15
	s_mov_b32 s21, s14
	;; [unrolled: 1-line block ×3, first 2 shown]
	s_waitcnt lgkmcnt(0)
	v_cmp_eq_u16_e64 s0, 0x100, s0
	s_delay_alu instid0(VALU_DEP_1)
	s_and_b32 vcc_lo, exec_lo, s0
	s_mov_b32 s0, -1
	s_cbranch_vccnz .LBB49_2
; %bb.1:
	s_add_u32 s8, s22, 0x58
	s_addc_u32 s9, s23, 0
	s_getpc_b64 s[0:1]
	s_add_u32 s0, s0, __PRETTY_FUNCTION__._ZN10amd_detail9transformIDF16_fLb0ELb0ELb0ELj16ELj16ELj4EEEvPT_PKS1_S4_T0_PKS5_S5_S7_jjjjjjbb@rel32@lo+4
	s_addc_u32 s1, s1, __PRETTY_FUNCTION__._ZN10amd_detail9transformIDF16_fLb0ELb0ELb0ELj16ELj16ELj4EEEvPT_PKS1_S4_T0_PKS5_S5_S7_jjjjjjbb@rel32@hi+12
	s_delay_alu instid0(SALU_CYCLE_1) | instskip(SKIP_3) | instid1(SALU_CYCLE_1)
	v_dual_mov_b32 v0, s0 :: v_dual_mov_b32 v1, s1
	s_getpc_b64 s[2:3]
	s_add_u32 s2, s2, __assert_fail@rel32@lo+4
	s_addc_u32 s3, s3, __assert_fail@rel32@hi+12
	s_swappc_b64 s[30:31], s[2:3]
	; divergent unreachable
	s_mov_b32 s0, 0
.LBB49_2:
	s_delay_alu instid0(SALU_CYCLE_1)
	s_and_not1_b32 vcc_lo, exec_lo, s0
	s_cbranch_vccnz .LBB49_55
; %bb.3:
	s_load_b256 s[4:11], s[22:23], 0x38
	s_waitcnt lgkmcnt(0)
	s_and_b32 s0, s4, 63
	s_lshr_b32 s1, s4, 6
	s_cmp_lg_u32 s0, 0
	s_cselect_b32 s0, -1, 0
	s_delay_alu instid0(SALU_CYCLE_1) | instskip(SKIP_4) | instid1(VALU_DEP_1)
	s_cmp_lg_u32 s0, 0
	s_addc_u32 s2, s1, 0
	s_load_b64 s[0:1], s[22:23], 0x20
	v_cvt_f32_u32_e32 v0, s2
	s_sub_i32 s11, 0, s2
	v_rcp_iflag_f32_e32 v0, v0
	s_waitcnt_depctr 0xfff
	v_mul_f32_e32 v0, 0x4f7ffffe, v0
	s_delay_alu instid0(VALU_DEP_1) | instskip(NEXT) | instid1(VALU_DEP_1)
	v_cvt_u32_f32_e32 v0, v0
	v_readfirstlane_b32 s3, v0
	s_delay_alu instid0(VALU_DEP_1) | instskip(NEXT) | instid1(SALU_CYCLE_1)
	s_mul_i32 s11, s11, s3
	s_mul_hi_u32 s11, s3, s11
	s_delay_alu instid0(SALU_CYCLE_1)
	s_add_i32 s3, s3, s11
	s_waitcnt lgkmcnt(0)
	s_cmp_eq_u64 s[0:1], 0
	s_mul_hi_u32 s3, s21, s3
	s_cbranch_scc1 .LBB49_6
; %bb.4:
	s_load_b32 s11, s[0:1], 0x0
	s_load_b64 s[0:1], s[22:23], 0x30
	s_waitcnt lgkmcnt(0)
	s_cmp_eq_u64 s[0:1], 0
	s_cbranch_scc1 .LBB49_7
.LBB49_5:
	s_load_b32 s16, s[0:1], 0x0
	s_branch .LBB49_8
.LBB49_6:
	s_clause 0x1
	s_load_b32 s11, s[22:23], 0x18
	s_load_b64 s[0:1], s[22:23], 0x30
	s_waitcnt lgkmcnt(0)
	s_cmp_eq_u64 s[0:1], 0
	s_cbranch_scc0 .LBB49_5
.LBB49_7:
	s_load_b32 s16, s[22:23], 0x28
.LBB49_8:
	s_mul_i32 s0, s3, s2
	s_add_i32 s1, s3, 1
	s_sub_i32 s0, s21, s0
	v_lshrrev_b32_e32 v0, 4, v41
	s_sub_i32 s12, s0, s2
	s_cmp_ge_u32 s0, s2
	s_cselect_b32 s1, s1, s3
	s_cselect_b32 s0, s12, s0
	s_add_i32 s3, s1, 1
	s_cmp_ge_u32 s0, s2
	s_mov_b32 s0, exec_lo
	s_cselect_b32 s1, s3, s1
	s_delay_alu instid0(SALU_CYCLE_1) | instskip(NEXT) | instid1(VALU_DEP_1)
	v_lshl_add_u32 v0, s1, 4, v0
	v_cmpx_gt_u32_e64 s5, v0
	s_cbranch_execz .LBB49_55
; %bb.9:
	v_dual_mov_b32 v10, 0 :: v_dual_lshlrev_b32 v1, 2, v41
	s_mul_i32 s1, s1, s2
	s_clause 0x1
	s_load_b128 s[12:15], s[22:23], 0x0
	s_load_b64 s[2:3], s[22:23], 0x10
	v_dual_mov_b32 v11, 0 :: v_dual_and_b32 v6, 60, v1
	s_sub_i32 s0, s21, s1
	s_bitcmp1_b32 s10, 0
	s_mul_i32 s24, s24, s9
	s_delay_alu instid0(VALU_DEP_1) | instskip(SKIP_1) | instid1(VALU_DEP_1)
	v_lshl_or_b32 v8, s0, 6, v6
	s_cselect_b32 vcc_lo, -1, 0
	v_add_nc_u32_e32 v9, 4, v8
	s_delay_alu instid0(VALU_DEP_1) | instskip(SKIP_3) | instid1(VALU_DEP_1)
	v_sub_nc_u32_e64 v7, v9, s4 clamp
	s_waitcnt lgkmcnt(0)
	s_cmp_lg_u64 s[14:15], 0
	s_cselect_b32 s5, -1, 0
	v_sub_nc_u32_e32 v1, v8, v7
	s_cmp_eq_u64 s[14:15], 0
	s_delay_alu instid0(VALU_DEP_1)
	v_mad_u64_u32 v[2:3], null, v0, s6, v[1:2]
	s_cbranch_scc1 .LBB49_11
; %bb.10:
	v_mad_u64_u32 v[3:4], null, v1, s6, v[0:1]
	s_delay_alu instid0(VALU_DEP_1) | instskip(NEXT) | instid1(VALU_DEP_1)
	v_dual_mov_b32 v4, 0 :: v_dual_cndmask_b32 v3, v2, v3
	v_add_nc_u32_e32 v3, s24, v3
	s_delay_alu instid0(VALU_DEP_1) | instskip(NEXT) | instid1(VALU_DEP_1)
	v_lshlrev_b64 v[3:4], 1, v[3:4]
	v_add_co_u32 v3, s0, s14, v3
	s_delay_alu instid0(VALU_DEP_1)
	v_add_co_ci_u32_e64 v4, s0, s15, v4, s0
	global_load_u16 v3, v[3:4], off
	s_waitcnt vmcnt(0)
	v_cvt_f32_f16_e32 v10, v3
.LBB49_11:
	s_load_b32 s0, s[22:23], 0x50
	s_delay_alu instid0(VALU_DEP_1)
	v_mad_u64_u32 v[3:4], null, v0, s7, v[1:2]
	v_mul_lo_u32 v12, v1, s7
	s_xor_b32 s10, vcc_lo, -1
	s_waitcnt lgkmcnt(0)
	s_bitcmp1_b32 s0, 8
	s_cselect_b32 s0, -1, 0
	s_cmp_lg_u64 s[2:3], 0
	s_cselect_b32 s9, -1, 0
	s_cmp_eq_u64 s[2:3], 0
	s_cbranch_scc1 .LBB49_13
; %bb.12:
	v_dual_mov_b32 v5, 0 :: v_dual_add_nc_u32 v4, v12, v0
	s_delay_alu instid0(VALU_DEP_1) | instskip(NEXT) | instid1(VALU_DEP_1)
	v_cndmask_b32_e64 v4, v3, v4, s0
	v_add_nc_u32_e32 v4, s24, v4
	s_delay_alu instid0(VALU_DEP_1) | instskip(NEXT) | instid1(VALU_DEP_1)
	v_lshlrev_b64 v[4:5], 1, v[4:5]
	v_add_co_u32 v4, vcc_lo, s2, v4
	s_delay_alu instid0(VALU_DEP_2)
	v_add_co_ci_u32_e32 v5, vcc_lo, s3, v5, vcc_lo
	global_load_u16 v4, v[4:5], off
	s_waitcnt vmcnt(0)
	v_cvt_f32_f16_e32 v11, v4
.LBB49_13:
	v_cndmask_b32_e64 v15, 0, 1, s10
	s_and_not1_b32 vcc_lo, exec_lo, s10
	s_cbranch_vccnz .LBB49_15
; %bb.14:
	v_add_nc_u32_e32 v4, 1, v2
	s_xor_b32 s0, s0, -1
	s_cbranch_execz .LBB49_16
	s_branch .LBB49_17
.LBB49_15:
                                        ; implicit-def: $vgpr4
	s_xor_b32 s0, s0, -1
.LBB49_16:
	v_mul_lo_u32 v4, s6, v1
	s_delay_alu instid0(VALU_DEP_1)
	v_add3_u32 v4, v4, s6, v0
.LBB49_17:
	v_cndmask_b32_e64 v16, 0, 1, s0
	s_and_not1_b32 vcc_lo, exec_lo, s0
	s_cbranch_vccnz .LBB49_19
; %bb.18:
	v_add_nc_u32_e32 v5, 1, v3
	s_cbranch_execz .LBB49_20
	s_branch .LBB49_21
.LBB49_19:
                                        ; implicit-def: $vgpr5
.LBB49_20:
	v_add3_u32 v5, v12, s7, v0
.LBB49_21:
	v_cndmask_b32_e64 v17, 0, 1, s5
	v_dual_mov_b32 v14, 0 :: v_dual_mov_b32 v13, 0
	s_and_not1_b32 vcc_lo, exec_lo, s5
	s_cbranch_vccnz .LBB49_23
; %bb.22:
	v_dual_mov_b32 v19, 0 :: v_dual_add_nc_u32 v18, s24, v4
	s_delay_alu instid0(VALU_DEP_1) | instskip(NEXT) | instid1(VALU_DEP_1)
	v_lshlrev_b64 v[18:19], 1, v[18:19]
	v_add_co_u32 v18, vcc_lo, s14, v18
	s_delay_alu instid0(VALU_DEP_2)
	v_add_co_ci_u32_e32 v19, vcc_lo, s15, v19, vcc_lo
	global_load_u16 v4, v[18:19], off
	s_waitcnt vmcnt(0)
	v_cvt_f32_f16_e32 v13, v4
.LBB49_23:
	v_cndmask_b32_e64 v18, 0, 1, s9
	s_and_not1_b32 vcc_lo, exec_lo, s9
	s_cbranch_vccnz .LBB49_25
; %bb.24:
	v_dual_mov_b32 v5, 0 :: v_dual_add_nc_u32 v4, s24, v5
	s_delay_alu instid0(VALU_DEP_1) | instskip(NEXT) | instid1(VALU_DEP_1)
	v_lshlrev_b64 v[4:5], 1, v[4:5]
	v_add_co_u32 v4, vcc_lo, s2, v4
	s_delay_alu instid0(VALU_DEP_2)
	v_add_co_ci_u32_e32 v5, vcc_lo, s3, v5, vcc_lo
	global_load_u16 v4, v[4:5], off
	s_waitcnt vmcnt(0)
	v_cvt_f32_f16_e32 v14, v4
.LBB49_25:
	v_cmp_ne_u32_e32 vcc_lo, 1, v15
	s_cbranch_vccnz .LBB49_27
; %bb.26:
	v_add_nc_u32_e32 v4, 2, v2
	s_cbranch_execz .LBB49_28
	s_branch .LBB49_29
.LBB49_27:
                                        ; implicit-def: $vgpr4
.LBB49_28:
	v_add_nc_u32_e32 v19, 2, v1
	s_delay_alu instid0(VALU_DEP_1)
	v_mad_u64_u32 v[4:5], null, v19, s6, v[0:1]
.LBB49_29:
	v_cmp_ne_u32_e32 vcc_lo, 1, v16
	s_cbranch_vccnz .LBB49_31
; %bb.30:
	v_add_nc_u32_e32 v5, 2, v3
	s_cbranch_execz .LBB49_32
	s_branch .LBB49_33
.LBB49_31:
                                        ; implicit-def: $vgpr5
.LBB49_32:
	s_lshl_b32 s0, s7, 1
	s_delay_alu instid0(SALU_CYCLE_1)
	v_add3_u32 v5, v12, s0, v0
.LBB49_33:
	v_cmp_ne_u32_e32 vcc_lo, 1, v17
	v_dual_mov_b32 v20, 0 :: v_dual_mov_b32 v19, 0
	s_cbranch_vccnz .LBB49_35
; %bb.34:
	v_dual_mov_b32 v22, 0 :: v_dual_add_nc_u32 v21, s24, v4
	s_delay_alu instid0(VALU_DEP_1) | instskip(NEXT) | instid1(VALU_DEP_1)
	v_lshlrev_b64 v[21:22], 1, v[21:22]
	v_add_co_u32 v21, vcc_lo, s14, v21
	s_delay_alu instid0(VALU_DEP_2)
	v_add_co_ci_u32_e32 v22, vcc_lo, s15, v22, vcc_lo
	global_load_u16 v4, v[21:22], off
	s_waitcnt vmcnt(0)
	v_cvt_f32_f16_e32 v19, v4
.LBB49_35:
	v_cmp_ne_u32_e32 vcc_lo, 1, v18
	s_cbranch_vccnz .LBB49_37
; %bb.36:
	v_dual_mov_b32 v5, 0 :: v_dual_add_nc_u32 v4, s24, v5
	s_delay_alu instid0(VALU_DEP_1) | instskip(NEXT) | instid1(VALU_DEP_1)
	v_lshlrev_b64 v[4:5], 1, v[4:5]
	v_add_co_u32 v4, vcc_lo, s2, v4
	s_delay_alu instid0(VALU_DEP_2)
	v_add_co_ci_u32_e32 v5, vcc_lo, s3, v5, vcc_lo
	global_load_u16 v4, v[4:5], off
	s_waitcnt vmcnt(0)
	v_cvt_f32_f16_e32 v20, v4
.LBB49_37:
	v_cmp_ne_u32_e32 vcc_lo, 1, v15
	s_cbranch_vccnz .LBB49_39
; %bb.38:
	v_add_nc_u32_e32 v4, 3, v2
	s_cbranch_execz .LBB49_40
	s_branch .LBB49_41
.LBB49_39:
                                        ; implicit-def: $vgpr4
.LBB49_40:
	v_add_nc_u32_e32 v1, 3, v1
	s_delay_alu instid0(VALU_DEP_1)
	v_mad_u64_u32 v[4:5], null, v1, s6, v[0:1]
.LBB49_41:
	v_cmp_ne_u32_e32 vcc_lo, 1, v16
	s_cbranch_vccnz .LBB49_43
; %bb.42:
	v_add_nc_u32_e32 v1, 3, v3
	s_cbranch_execz .LBB49_44
	s_branch .LBB49_45
.LBB49_43:
                                        ; implicit-def: $vgpr1
.LBB49_44:
	s_mul_i32 s0, s7, 3
	s_delay_alu instid0(SALU_CYCLE_1)
	v_add3_u32 v1, v12, s0, v0
.LBB49_45:
	v_cmp_ne_u32_e32 vcc_lo, 1, v17
	v_dual_mov_b32 v3, 0 :: v_dual_mov_b32 v2, 0
	s_cbranch_vccnz .LBB49_47
; %bb.46:
	v_dual_mov_b32 v5, 0 :: v_dual_add_nc_u32 v4, s24, v4
	s_delay_alu instid0(VALU_DEP_1) | instskip(NEXT) | instid1(VALU_DEP_1)
	v_lshlrev_b64 v[4:5], 1, v[4:5]
	v_add_co_u32 v4, vcc_lo, s14, v4
	s_delay_alu instid0(VALU_DEP_2)
	v_add_co_ci_u32_e32 v5, vcc_lo, s15, v5, vcc_lo
	global_load_u16 v2, v[4:5], off
	s_waitcnt vmcnt(0)
	v_cvt_f32_f16_e32 v2, v2
.LBB49_47:
	v_cmp_ne_u32_e32 vcc_lo, 1, v18
	s_cbranch_vccnz .LBB49_49
; %bb.48:
	v_dual_mov_b32 v4, 0 :: v_dual_add_nc_u32 v3, s24, v1
	s_delay_alu instid0(VALU_DEP_1) | instskip(NEXT) | instid1(VALU_DEP_1)
	v_lshlrev_b64 v[3:4], 1, v[3:4]
	v_add_co_u32 v3, vcc_lo, s2, v3
	s_delay_alu instid0(VALU_DEP_2)
	v_add_co_ci_u32_e32 v4, vcc_lo, s3, v4, vcc_lo
	global_load_u16 v1, v[3:4], off
	s_waitcnt vmcnt(0)
	v_cvt_f32_f16_e32 v3, v1
.LBB49_49:
	v_dual_mul_f32 v1, s16, v11 :: v_dual_mul_f32 v4, s16, v14
	s_delay_alu instid0(VALU_DEP_2) | instskip(SKIP_1) | instid1(VALU_DEP_3)
	v_dual_mul_f32 v11, s16, v20 :: v_dual_mul_f32 v12, s16, v3
	v_mul_lo_u32 v0, v0, s8
	v_fma_mixlo_f16 v5, s11, v10, v1
	s_delay_alu instid0(VALU_DEP_4) | instskip(NEXT) | instid1(VALU_DEP_4)
	v_fma_mixlo_f16 v4, s11, v13, v4
	v_fma_mixlo_f16 v3, s11, v19, v11
	;; [unrolled: 1-line block ×3, first 2 shown]
	s_mov_b32 s0, exec_lo
	v_cmpx_ge_u32_e64 s4, v9
	s_xor_b32 s0, exec_lo, s0
	s_cbranch_execz .LBB49_51
; %bb.50:
	v_add_nc_u32_e32 v1, s24, v8
	s_delay_alu instid0(VALU_DEP_1) | instskip(NEXT) | instid1(VALU_DEP_1)
	v_sub_nc_u32_e32 v6, v1, v7
	v_dual_mov_b32 v1, 0 :: v_dual_add_nc_u32 v0, v6, v0
	s_delay_alu instid0(VALU_DEP_1) | instskip(NEXT) | instid1(VALU_DEP_2)
	v_mov_b32_e32 v7, v1
	v_dual_mov_b32 v9, v1 :: v_dual_add_nc_u32 v8, 2, v0
	v_add_nc_u32_e32 v6, 1, v0
	v_lshlrev_b64 v[10:11], 1, v[0:1]
	v_add_nc_u32_e32 v0, 3, v0
	s_delay_alu instid0(VALU_DEP_4) | instskip(NEXT) | instid1(VALU_DEP_4)
	v_lshlrev_b64 v[8:9], 1, v[8:9]
	v_lshlrev_b64 v[6:7], 1, v[6:7]
	s_delay_alu instid0(VALU_DEP_4) | instskip(SKIP_2) | instid1(VALU_DEP_4)
	v_add_co_u32 v10, vcc_lo, s12, v10
	v_add_co_ci_u32_e32 v11, vcc_lo, s13, v11, vcc_lo
	v_lshlrev_b64 v[0:1], 1, v[0:1]
	v_add_co_u32 v6, vcc_lo, s12, v6
	v_add_co_ci_u32_e32 v7, vcc_lo, s13, v7, vcc_lo
	v_add_co_u32 v8, vcc_lo, s12, v8
	v_add_co_ci_u32_e32 v9, vcc_lo, s13, v9, vcc_lo
	;; [unrolled: 2-line block ×3, first 2 shown]
	s_clause 0x3
	global_store_b16 v[10:11], v5, off
	global_store_b16 v[6:7], v4, off
	;; [unrolled: 1-line block ×4, first 2 shown]
                                        ; implicit-def: $vgpr7
                                        ; implicit-def: $vgpr2
                                        ; implicit-def: $vgpr3
                                        ; implicit-def: $vgpr4
                                        ; implicit-def: $vgpr5
                                        ; implicit-def: $vgpr6
                                        ; implicit-def: $vgpr0
.LBB49_51:
	s_and_not1_saveexec_b32 s0, s0
	s_cbranch_execz .LBB49_55
; %bb.52:
	v_cmp_gt_u32_e32 vcc_lo, 4, v7
	s_and_b32 exec_lo, exec_lo, vcc_lo
	s_cbranch_execz .LBB49_55
; %bb.53:
	v_lshl_or_b32 v1, s21, 6, v6
	s_lshl_b32 s0, s1, 6
	v_perm_b32 v3, v2, v3, 0x5040100
	v_perm_b32 v2, v4, v5, 0x5040100
	s_mov_b32 s2, 0
	v_subrev_nc_u32_e32 v6, s0, v1
	v_add3_u32 v9, s24, v0, v1
	v_mov_b32_e32 v1, 0
	s_delay_alu instid0(VALU_DEP_3) | instskip(NEXT) | instid1(VALU_DEP_1)
	v_add_nc_u32_e32 v7, 4, v6
	v_min_u32_e32 v8, s4, v7
	s_delay_alu instid0(VALU_DEP_1) | instskip(SKIP_2) | instid1(VALU_DEP_3)
	v_sub_nc_u32_e32 v6, v6, v8
	v_sub_nc_u32_e32 v0, v7, v8
	v_subrev_nc_u32_e32 v7, s0, v9
	v_dual_mov_b32 v5, v1 :: v_dual_add_nc_u32 v6, 3, v6
	s_delay_alu instid0(VALU_DEP_3) | instskip(NEXT) | instid1(VALU_DEP_3)
	v_mov_b32_e32 v4, v0
	v_mov_b32_e32 v0, v7
	.p2align	6
.LBB49_54:                              ; =>This Inner Loop Header: Depth=1
	s_delay_alu instid0(VALU_DEP_1) | instskip(NEXT) | instid1(VALU_DEP_4)
	v_lshlrev_b64 v[7:8], 1, v[0:1]
	v_add_nc_u32_e32 v6, 1, v6
	s_delay_alu instid0(VALU_DEP_4) | instskip(SKIP_2) | instid1(VALU_DEP_4)
	v_lshlrev_b32_e32 v9, 4, v4
	v_add_co_u32 v4, vcc_lo, v4, 1
	v_add_nc_u32_e32 v0, 1, v0
	v_cmp_lt_u32_e64 s0, 2, v6
	v_add_co_u32 v7, s1, s12, v7
	v_lshrrev_b64 v[9:10], v9, v[2:3]
	v_add_co_ci_u32_e64 v8, s1, s13, v8, s1
	v_add_co_ci_u32_e32 v5, vcc_lo, 0, v5, vcc_lo
	s_or_b32 s2, s0, s2
	global_store_b16 v[7:8], v9, off
	s_and_not1_b32 exec_lo, exec_lo, s2
	s_cbranch_execnz .LBB49_54
.LBB49_55:
	s_endpgm
	.section	.rodata,"a",@progbits
	.p2align	6, 0x0
	.amdhsa_kernel Transform_H_S_000_16_16_VW_4
		.amdhsa_group_segment_fixed_size 0
		.amdhsa_private_segment_fixed_size 64
		.amdhsa_kernarg_size 344
		.amdhsa_user_sgpr_count 14
		.amdhsa_user_sgpr_dispatch_ptr 0
		.amdhsa_user_sgpr_queue_ptr 0
		.amdhsa_user_sgpr_kernarg_segment_ptr 1
		.amdhsa_user_sgpr_dispatch_id 0
		.amdhsa_user_sgpr_private_segment_size 0
		.amdhsa_wavefront_size32 1
		.amdhsa_uses_dynamic_stack 0
		.amdhsa_enable_private_segment 1
		.amdhsa_system_sgpr_workgroup_id_x 1
		.amdhsa_system_sgpr_workgroup_id_y 0
		.amdhsa_system_sgpr_workgroup_id_z 1
		.amdhsa_system_sgpr_workgroup_info 0
		.amdhsa_system_vgpr_workitem_id 0
		.amdhsa_next_free_vgpr 42
		.amdhsa_next_free_sgpr 34
		.amdhsa_reserve_vcc 1
		.amdhsa_float_round_mode_32 0
		.amdhsa_float_round_mode_16_64 0
		.amdhsa_float_denorm_mode_32 3
		.amdhsa_float_denorm_mode_16_64 3
		.amdhsa_dx10_clamp 1
		.amdhsa_ieee_mode 1
		.amdhsa_fp16_overflow 0
		.amdhsa_workgroup_processor_mode 1
		.amdhsa_memory_ordered 1
		.amdhsa_forward_progress 0
		.amdhsa_shared_vgpr_count 0
		.amdhsa_exception_fp_ieee_invalid_op 0
		.amdhsa_exception_fp_denorm_src 0
		.amdhsa_exception_fp_ieee_div_zero 0
		.amdhsa_exception_fp_ieee_overflow 0
		.amdhsa_exception_fp_ieee_underflow 0
		.amdhsa_exception_fp_ieee_inexact 0
		.amdhsa_exception_int_div_zero 0
	.end_amdhsa_kernel
	.text
.Lfunc_end49:
	.size	Transform_H_S_000_16_16_VW_4, .Lfunc_end49-Transform_H_S_000_16_16_VW_4
                                        ; -- End function
	.section	.AMDGPU.csdata,"",@progbits
; Kernel info:
; codeLenInByte = 1844
; NumSgprs: 36
; NumVgprs: 42
; ScratchSize: 64
; MemoryBound: 0
; FloatMode: 240
; IeeeMode: 1
; LDSByteSize: 0 bytes/workgroup (compile time only)
; SGPRBlocks: 4
; VGPRBlocks: 5
; NumSGPRsForWavesPerEU: 36
; NumVGPRsForWavesPerEU: 42
; Occupancy: 16
; WaveLimiterHint : 1
; COMPUTE_PGM_RSRC2:SCRATCH_EN: 1
; COMPUTE_PGM_RSRC2:USER_SGPR: 14
; COMPUTE_PGM_RSRC2:TRAP_HANDLER: 0
; COMPUTE_PGM_RSRC2:TGID_X_EN: 1
; COMPUTE_PGM_RSRC2:TGID_Y_EN: 0
; COMPUTE_PGM_RSRC2:TGID_Z_EN: 1
; COMPUTE_PGM_RSRC2:TIDIG_COMP_CNT: 0
	.text
	.protected	Transform_BF16_S_111_16_16_VW_1 ; -- Begin function Transform_BF16_S_111_16_16_VW_1
	.globl	Transform_BF16_S_111_16_16_VW_1
	.p2align	8
	.type	Transform_BF16_S_111_16_16_VW_1,@function
Transform_BF16_S_111_16_16_VW_1:        ; @Transform_BF16_S_111_16_16_VW_1
; %bb.0:
	s_mov_b64 s[22:23], s[0:1]
	s_load_b32 s0, s[0:1], 0x64
	v_mov_b32_e32 v41, v0
	s_mov_b32 s21, s15
	s_mov_b32 s24, s14
	;; [unrolled: 1-line block ×3, first 2 shown]
	s_waitcnt lgkmcnt(0)
	v_cmp_eq_u16_e64 s0, 0x100, s0
	s_delay_alu instid0(VALU_DEP_1)
	s_and_b32 vcc_lo, exec_lo, s0
	s_mov_b32 s0, -1
	s_cbranch_vccnz .LBB50_2
; %bb.1:
	s_add_u32 s8, s22, 0x58
	s_addc_u32 s9, s23, 0
	s_getpc_b64 s[0:1]
	s_add_u32 s0, s0, __PRETTY_FUNCTION__._ZN10amd_detail9transformI12hip_bfloat16fLb1ELb1ELb1ELj16ELj16ELj1EEEvPT_PKS2_S5_T0_PKS6_S6_S8_jjjjjjbb@rel32@lo+4
	s_addc_u32 s1, s1, __PRETTY_FUNCTION__._ZN10amd_detail9transformI12hip_bfloat16fLb1ELb1ELb1ELj16ELj16ELj1EEEvPT_PKS2_S5_T0_PKS6_S6_S8_jjjjjjbb@rel32@hi+12
	s_delay_alu instid0(SALU_CYCLE_1) | instskip(SKIP_3) | instid1(SALU_CYCLE_1)
	v_dual_mov_b32 v0, s0 :: v_dual_mov_b32 v1, s1
	s_getpc_b64 s[2:3]
	s_add_u32 s2, s2, __assert_fail@rel32@lo+4
	s_addc_u32 s3, s3, __assert_fail@rel32@hi+12
	s_swappc_b64 s[30:31], s[2:3]
	; divergent unreachable
	s_mov_b32 s0, 0
.LBB50_2:
	s_delay_alu instid0(SALU_CYCLE_1)
	s_and_not1_b32 vcc_lo, exec_lo, s0
	s_cbranch_vccnz .LBB50_18
; %bb.3:
	s_load_b256 s[0:7], s[22:23], 0x38
	s_waitcnt lgkmcnt(0)
	s_and_b32 s7, s0, 15
	s_lshr_b32 s8, s0, 4
	s_cmp_lg_u32 s7, 0
	s_cselect_b32 s7, -1, 0
	s_delay_alu instid0(SALU_CYCLE_1) | instskip(SKIP_4) | instid1(VALU_DEP_1)
	s_cmp_lg_u32 s7, 0
	s_addc_u32 s10, s8, 0
	s_load_b64 s[8:9], s[22:23], 0x20
	v_cvt_f32_u32_e32 v0, s10
	s_sub_i32 s11, 0, s10
	v_rcp_iflag_f32_e32 v0, v0
	s_waitcnt_depctr 0xfff
	v_mul_f32_e32 v0, 0x4f7ffffe, v0
	s_delay_alu instid0(VALU_DEP_1) | instskip(NEXT) | instid1(VALU_DEP_1)
	v_cvt_u32_f32_e32 v0, v0
	v_readfirstlane_b32 s7, v0
	s_delay_alu instid0(VALU_DEP_1) | instskip(NEXT) | instid1(SALU_CYCLE_1)
	s_mul_i32 s11, s11, s7
	s_mul_hi_u32 s11, s7, s11
	s_delay_alu instid0(SALU_CYCLE_1)
	s_add_i32 s7, s7, s11
	s_waitcnt lgkmcnt(0)
	s_cmp_eq_u64 s[8:9], 0
	s_mul_hi_u32 s11, s24, s7
	s_cbranch_scc1 .LBB50_6
; %bb.4:
	s_load_b32 s7, s[8:9], 0x0
	s_load_b64 s[8:9], s[22:23], 0x30
	s_waitcnt lgkmcnt(0)
	s_cmp_eq_u64 s[8:9], 0
	s_cbranch_scc1 .LBB50_7
.LBB50_5:
	s_load_b32 s12, s[8:9], 0x0
	s_branch .LBB50_8
.LBB50_6:
	s_clause 0x1
	s_load_b32 s7, s[22:23], 0x18
	s_load_b64 s[8:9], s[22:23], 0x30
	s_waitcnt lgkmcnt(0)
	s_cmp_eq_u64 s[8:9], 0
	s_cbranch_scc0 .LBB50_5
.LBB50_7:
	s_load_b32 s12, s[22:23], 0x28
.LBB50_8:
	s_mul_i32 s8, s11, s10
	s_add_i32 s9, s11, 1
	s_sub_i32 s8, s24, s8
	v_and_b32_e32 v0, 15, v41
	s_sub_i32 s13, s8, s10
	s_cmp_ge_u32 s8, s10
	v_lshrrev_b32_e32 v2, 4, v41
	s_cselect_b32 s9, s9, s11
	s_cselect_b32 s8, s13, s8
	s_add_i32 s11, s9, 1
	s_cmp_ge_u32 s8, s10
	s_cselect_b32 s8, s11, s9
	s_delay_alu instid0(SALU_CYCLE_1) | instskip(NEXT) | instid1(SALU_CYCLE_1)
	s_mul_i32 s9, s8, s10
	s_sub_i32 s9, s24, s9
	s_delay_alu instid0(SALU_CYCLE_1) | instskip(SKIP_1) | instid1(VALU_DEP_2)
	v_lshl_or_b32 v1, s9, 4, v0
	v_lshl_add_u32 v0, s8, 4, v2
	v_cmp_gt_u32_e32 vcc_lo, s0, v1
	s_delay_alu instid0(VALU_DEP_2) | instskip(NEXT) | instid1(VALU_DEP_1)
	v_cmp_gt_u32_e64 s0, s1, v0
	s_and_b32 s0, vcc_lo, s0
	s_delay_alu instid0(SALU_CYCLE_1)
	s_and_saveexec_b32 s1, s0
	s_cbranch_execz .LBB50_18
; %bb.9:
	s_clause 0x1
	s_load_b128 s[8:11], s[22:23], 0x0
	s_load_b64 s[0:1], s[22:23], 0x10
	v_dual_mov_b32 v3, 0 :: v_dual_mov_b32 v2, 0
	s_mul_i32 s21, s21, s5
	s_waitcnt lgkmcnt(0)
	s_cmp_eq_u64 s[10:11], 0
	s_cbranch_scc1 .LBB50_11
; %bb.10:
	s_bitcmp1_b32 s6, 0
	v_mov_b32_e32 v5, 0
	s_cselect_b32 vcc_lo, -1, 0
	v_cndmask_b32_e32 v2, v1, v0, vcc_lo
	v_cndmask_b32_e32 v4, v0, v1, vcc_lo
	s_delay_alu instid0(VALU_DEP_2) | instskip(NEXT) | instid1(VALU_DEP_1)
	v_mul_lo_u32 v2, v2, s2
	v_add3_u32 v4, v4, s21, v2
	s_delay_alu instid0(VALU_DEP_1) | instskip(NEXT) | instid1(VALU_DEP_1)
	v_lshlrev_b64 v[4:5], 1, v[4:5]
	v_add_co_u32 v4, vcc_lo, s10, v4
	s_delay_alu instid0(VALU_DEP_2)
	v_add_co_ci_u32_e32 v5, vcc_lo, s11, v5, vcc_lo
	global_load_u16 v2, v[4:5], off
	s_waitcnt vmcnt(0)
	v_lshlrev_b32_e32 v2, 16, v2
.LBB50_11:
	s_cmp_eq_u64 s[0:1], 0
	s_cbranch_scc1 .LBB50_13
; %bb.12:
	s_load_b32 s2, s[22:23], 0x50
	v_mov_b32_e32 v4, 0
	s_waitcnt lgkmcnt(0)
	s_bitcmp1_b32 s2, 8
	s_cselect_b32 vcc_lo, -1, 0
	v_cndmask_b32_e32 v3, v1, v0, vcc_lo
	v_cndmask_b32_e32 v5, v0, v1, vcc_lo
	s_delay_alu instid0(VALU_DEP_2) | instskip(NEXT) | instid1(VALU_DEP_1)
	v_mul_lo_u32 v3, v3, s3
	v_add3_u32 v3, v5, s21, v3
	s_delay_alu instid0(VALU_DEP_1) | instskip(NEXT) | instid1(VALU_DEP_1)
	v_lshlrev_b64 v[3:4], 1, v[3:4]
	v_add_co_u32 v3, vcc_lo, s0, v3
	s_delay_alu instid0(VALU_DEP_2)
	v_add_co_ci_u32_e32 v4, vcc_lo, s1, v4, vcc_lo
	global_load_u16 v3, v[3:4], off
	s_waitcnt vmcnt(0)
	v_lshlrev_b32_e32 v3, 16, v3
.LBB50_13:
	s_delay_alu instid0(VALU_DEP_1) | instskip(NEXT) | instid1(VALU_DEP_1)
	v_mul_f32_e32 v3, s12, v3
	v_fmac_f32_e32 v3, s7, v2
	s_delay_alu instid0(VALU_DEP_1) | instskip(NEXT) | instid1(VALU_DEP_1)
	v_and_b32_e32 v2, 0x7f800000, v3
	v_cmp_ne_u32_e32 vcc_lo, 0x7f800000, v2
                                        ; implicit-def: $vgpr2
	s_and_saveexec_b32 s0, vcc_lo
	s_delay_alu instid0(SALU_CYCLE_1)
	s_xor_b32 s0, exec_lo, s0
; %bb.14:
	v_bfe_u32 v2, v3, 16, 1
	s_delay_alu instid0(VALU_DEP_1)
	v_add3_u32 v2, v3, v2, 0x7fff
                                        ; implicit-def: $vgpr3
; %bb.15:
	s_and_not1_saveexec_b32 s0, s0
; %bb.16:
	v_and_b32_e32 v2, 0xffff, v3
	v_or_b32_e32 v4, 0x10000, v3
	s_delay_alu instid0(VALU_DEP_2) | instskip(NEXT) | instid1(VALU_DEP_2)
	v_cmp_eq_u32_e32 vcc_lo, 0, v2
	v_cndmask_b32_e32 v2, v4, v3, vcc_lo
; %bb.17:
	s_or_b32 exec_lo, exec_lo, s0
	v_mul_lo_u32 v3, v1, s4
	v_mov_b32_e32 v1, 0
	s_delay_alu instid0(VALU_DEP_2) | instskip(NEXT) | instid1(VALU_DEP_1)
	v_add3_u32 v0, v0, s21, v3
	v_lshlrev_b64 v[0:1], 1, v[0:1]
	s_delay_alu instid0(VALU_DEP_1) | instskip(NEXT) | instid1(VALU_DEP_2)
	v_add_co_u32 v0, vcc_lo, s8, v0
	v_add_co_ci_u32_e32 v1, vcc_lo, s9, v1, vcc_lo
	global_store_d16_hi_b16 v[0:1], v2, off
.LBB50_18:
	s_endpgm
	.section	.rodata,"a",@progbits
	.p2align	6, 0x0
	.amdhsa_kernel Transform_BF16_S_111_16_16_VW_1
		.amdhsa_group_segment_fixed_size 0
		.amdhsa_private_segment_fixed_size 64
		.amdhsa_kernarg_size 344
		.amdhsa_user_sgpr_count 14
		.amdhsa_user_sgpr_dispatch_ptr 0
		.amdhsa_user_sgpr_queue_ptr 0
		.amdhsa_user_sgpr_kernarg_segment_ptr 1
		.amdhsa_user_sgpr_dispatch_id 0
		.amdhsa_user_sgpr_private_segment_size 0
		.amdhsa_wavefront_size32 1
		.amdhsa_uses_dynamic_stack 0
		.amdhsa_enable_private_segment 1
		.amdhsa_system_sgpr_workgroup_id_x 1
		.amdhsa_system_sgpr_workgroup_id_y 0
		.amdhsa_system_sgpr_workgroup_id_z 1
		.amdhsa_system_sgpr_workgroup_info 0
		.amdhsa_system_vgpr_workitem_id 0
		.amdhsa_next_free_vgpr 42
		.amdhsa_next_free_sgpr 34
		.amdhsa_reserve_vcc 1
		.amdhsa_float_round_mode_32 0
		.amdhsa_float_round_mode_16_64 0
		.amdhsa_float_denorm_mode_32 3
		.amdhsa_float_denorm_mode_16_64 3
		.amdhsa_dx10_clamp 1
		.amdhsa_ieee_mode 1
		.amdhsa_fp16_overflow 0
		.amdhsa_workgroup_processor_mode 1
		.amdhsa_memory_ordered 1
		.amdhsa_forward_progress 0
		.amdhsa_shared_vgpr_count 0
		.amdhsa_exception_fp_ieee_invalid_op 0
		.amdhsa_exception_fp_denorm_src 0
		.amdhsa_exception_fp_ieee_div_zero 0
		.amdhsa_exception_fp_ieee_overflow 0
		.amdhsa_exception_fp_ieee_underflow 0
		.amdhsa_exception_fp_ieee_inexact 0
		.amdhsa_exception_int_div_zero 0
	.end_amdhsa_kernel
	.text
.Lfunc_end50:
	.size	Transform_BF16_S_111_16_16_VW_1, .Lfunc_end50-Transform_BF16_S_111_16_16_VW_1
                                        ; -- End function
	.section	.AMDGPU.csdata,"",@progbits
; Kernel info:
; codeLenInByte = 852
; NumSgprs: 36
; NumVgprs: 42
; ScratchSize: 64
; MemoryBound: 0
; FloatMode: 240
; IeeeMode: 1
; LDSByteSize: 0 bytes/workgroup (compile time only)
; SGPRBlocks: 4
; VGPRBlocks: 5
; NumSGPRsForWavesPerEU: 36
; NumVGPRsForWavesPerEU: 42
; Occupancy: 16
; WaveLimiterHint : 1
; COMPUTE_PGM_RSRC2:SCRATCH_EN: 1
; COMPUTE_PGM_RSRC2:USER_SGPR: 14
; COMPUTE_PGM_RSRC2:TRAP_HANDLER: 0
; COMPUTE_PGM_RSRC2:TGID_X_EN: 1
; COMPUTE_PGM_RSRC2:TGID_Y_EN: 0
; COMPUTE_PGM_RSRC2:TGID_Z_EN: 1
; COMPUTE_PGM_RSRC2:TIDIG_COMP_CNT: 0
	.text
	.protected	Transform_BF16_S_111_16_16_VW_4 ; -- Begin function Transform_BF16_S_111_16_16_VW_4
	.globl	Transform_BF16_S_111_16_16_VW_4
	.p2align	8
	.type	Transform_BF16_S_111_16_16_VW_4,@function
Transform_BF16_S_111_16_16_VW_4:        ; @Transform_BF16_S_111_16_16_VW_4
; %bb.0:
	s_mov_b64 s[22:23], s[0:1]
	s_load_b32 s0, s[2:3], 0x64
	v_mov_b32_e32 v41, v0
	s_mov_b32 s26, s15
	s_mov_b64 s[24:25], s[2:3]
	s_mov_b32 s21, s14
	s_mov_b32 s32, 0
	s_waitcnt lgkmcnt(0)
	v_cmp_eq_u16_e64 s0, 0x100, s0
	s_delay_alu instid0(VALU_DEP_1)
	s_and_b32 vcc_lo, exec_lo, s0
	s_mov_b32 s0, -1
	s_cbranch_vccnz .LBB51_2
; %bb.1:
	s_add_u32 s8, s24, 0x58
	s_addc_u32 s9, s25, 0
	s_getpc_b64 s[0:1]
	s_add_u32 s0, s0, __PRETTY_FUNCTION__._ZN10amd_detail9transformI12hip_bfloat16fLb1ELb1ELb1ELj16ELj16ELj4EEEvPT_PKS2_S5_T0_PKS6_S6_S8_jjjjjjbb@rel32@lo+4
	s_addc_u32 s1, s1, __PRETTY_FUNCTION__._ZN10amd_detail9transformI12hip_bfloat16fLb1ELb1ELb1ELj16ELj16ELj4EEEvPT_PKS2_S5_T0_PKS6_S6_S8_jjjjjjbb@rel32@hi+12
	s_delay_alu instid0(SALU_CYCLE_1) | instskip(SKIP_3) | instid1(SALU_CYCLE_1)
	v_dual_mov_b32 v0, s0 :: v_dual_mov_b32 v1, s1
	s_getpc_b64 s[2:3]
	s_add_u32 s2, s2, __assert_fail@rel32@lo+4
	s_addc_u32 s3, s3, __assert_fail@rel32@hi+12
	s_swappc_b64 s[30:31], s[2:3]
	; divergent unreachable
	s_mov_b32 s0, 0
.LBB51_2:
	s_delay_alu instid0(SALU_CYCLE_1)
	s_and_not1_b32 vcc_lo, exec_lo, s0
	s_cbranch_vccnz .LBB51_71
; %bb.3:
	s_load_b128 s[0:3], s[24:25], 0x38
	s_waitcnt lgkmcnt(0)
	s_and_b32 s4, s0, 15
	s_lshr_b32 s5, s0, 4
	s_cmp_lg_u32 s4, 0
	s_cselect_b32 s4, -1, 0
	s_delay_alu instid0(SALU_CYCLE_1) | instskip(SKIP_4) | instid1(VALU_DEP_1)
	s_cmp_lg_u32 s4, 0
	s_addc_u32 s6, s5, 0
	s_load_b64 s[4:5], s[24:25], 0x20
	v_cvt_f32_u32_e32 v0, s6
	s_sub_i32 s8, 0, s6
	v_rcp_iflag_f32_e32 v0, v0
	s_waitcnt_depctr 0xfff
	v_mul_f32_e32 v0, 0x4f7ffffe, v0
	s_delay_alu instid0(VALU_DEP_1) | instskip(NEXT) | instid1(VALU_DEP_1)
	v_cvt_u32_f32_e32 v0, v0
	v_readfirstlane_b32 s7, v0
	s_delay_alu instid0(VALU_DEP_1) | instskip(NEXT) | instid1(SALU_CYCLE_1)
	s_mul_i32 s8, s8, s7
	s_mul_hi_u32 s8, s7, s8
	s_delay_alu instid0(SALU_CYCLE_1)
	s_add_i32 s7, s7, s8
	s_waitcnt lgkmcnt(0)
	s_cmp_eq_u64 s[4:5], 0
	s_mul_hi_u32 s7, s21, s7
	s_cbranch_scc1 .LBB51_6
; %bb.4:
	s_load_b32 s16, s[4:5], 0x0
	s_load_b64 s[4:5], s[24:25], 0x30
	s_waitcnt lgkmcnt(0)
	s_cmp_eq_u64 s[4:5], 0
	s_cbranch_scc1 .LBB51_7
.LBB51_5:
	s_load_b32 s17, s[4:5], 0x0
	s_branch .LBB51_8
.LBB51_6:
	s_clause 0x1
	s_load_b32 s16, s[24:25], 0x18
	s_load_b64 s[4:5], s[24:25], 0x30
	s_waitcnt lgkmcnt(0)
	s_cmp_eq_u64 s[4:5], 0
	s_cbranch_scc0 .LBB51_5
.LBB51_7:
	s_load_b32 s17, s[24:25], 0x28
.LBB51_8:
	s_mul_i32 s4, s7, s6
	s_add_i32 s5, s7, 1
	s_sub_i32 s4, s21, s4
	v_and_b32_e32 v4, 0x3ff, v41
	s_sub_i32 s8, s4, s6
	s_cmp_ge_u32 s4, s6
	s_cselect_b32 s5, s5, s7
	s_cselect_b32 s4, s8, s4
	s_add_i32 s7, s5, 1
	s_cmp_ge_u32 s4, s6
	v_and_b32_e32 v5, 15, v4
	s_cselect_b32 s14, s7, s5
	s_delay_alu instid0(SALU_CYCLE_1) | instskip(NEXT) | instid1(SALU_CYCLE_1)
	s_mul_i32 s15, s14, s6
	s_sub_i32 s4, s21, s15
	s_delay_alu instid0(VALU_DEP_1) | instid1(SALU_CYCLE_1)
	v_lshl_or_b32 v1, s4, 4, v5
	s_delay_alu instid0(VALU_DEP_1)
	v_cmp_gt_u32_e32 vcc_lo, s0, v1
	s_and_saveexec_b32 s0, vcc_lo
	s_cbranch_execz .LBB51_71
; %bb.9:
	v_lshrrev_b32_e32 v0, 2, v4
	s_clause 0x1
	s_load_b128 s[8:11], s[24:25], 0x48
	s_load_b128 s[4:7], s[24:25], 0x0
	s_waitcnt lgkmcnt(0)
	s_lshl_b32 s11, s14, 6
	s_load_b64 s[12:13], s[24:25], 0x10
	v_dual_mov_b32 v9, 0 :: v_dual_and_b32 v6, 0xfc, v0
	v_mov_b32_e32 v10, 0
	s_delay_alu instid0(VALU_DEP_2) | instskip(NEXT) | instid1(VALU_DEP_1)
	v_add_nc_u32_e32 v0, s11, v6
	v_add_nc_u32_e32 v7, 4, v0
	v_mad_u64_u32 v[2:3], null, v1, s2, v[0:1]
	s_bitcmp1_b32 s10, 0
	s_delay_alu instid0(VALU_DEP_2) | instskip(SKIP_4) | instid1(VALU_DEP_2)
	v_sub_nc_u32_e64 v8, v7, s1 clamp
	s_cselect_b32 vcc_lo, -1, 0
	s_cmp_lg_u64 s[6:7], 0
	s_mul_i32 s26, s26, s9
	s_cselect_b32 s10, -1, 0
	v_sub_nc_u32_e32 v15, v2, v8
	v_sub_nc_u32_e32 v11, v0, v8
	s_cmp_eq_u64 s[6:7], 0
	s_cbranch_scc1 .LBB51_11
; %bb.10:
	s_delay_alu instid0(VALU_DEP_1) | instskip(NEXT) | instid1(VALU_DEP_1)
	v_mad_u64_u32 v[2:3], null, v11, s2, v[1:2]
	v_dual_mov_b32 v3, 0 :: v_dual_cndmask_b32 v2, v15, v2
	s_delay_alu instid0(VALU_DEP_1) | instskip(NEXT) | instid1(VALU_DEP_1)
	v_add_nc_u32_e32 v2, s26, v2
	v_lshlrev_b64 v[2:3], 1, v[2:3]
	s_delay_alu instid0(VALU_DEP_1) | instskip(NEXT) | instid1(VALU_DEP_1)
	v_add_co_u32 v2, s0, s6, v2
	v_add_co_ci_u32_e64 v3, s0, s7, v3, s0
	global_load_u16 v2, v[2:3], off
	s_waitcnt vmcnt(0)
	v_lshlrev_b32_e32 v10, 16, v2
.LBB51_11:
	s_load_b32 s0, s[24:25], 0x50
	v_mad_u64_u32 v[2:3], null, v1, s3, v[0:1]
	v_mul_lo_u32 v12, v11, s3
	s_xor_b32 s18, vcc_lo, -1
	s_delay_alu instid0(VALU_DEP_2)
	v_sub_nc_u32_e32 v16, v2, v8
	s_waitcnt lgkmcnt(0)
	s_bitcmp1_b32 s0, 8
	s_cselect_b32 s0, -1, 0
	s_cmp_lg_u64 s[12:13], 0
	s_cselect_b32 s9, -1, 0
	s_cmp_eq_u64 s[12:13], 0
	s_cbranch_scc1 .LBB51_13
; %bb.12:
	v_dual_mov_b32 v3, 0 :: v_dual_add_nc_u32 v2, v12, v1
	s_delay_alu instid0(VALU_DEP_1) | instskip(NEXT) | instid1(VALU_DEP_1)
	v_cndmask_b32_e64 v2, v16, v2, s0
	v_add_nc_u32_e32 v2, s26, v2
	s_delay_alu instid0(VALU_DEP_1) | instskip(NEXT) | instid1(VALU_DEP_1)
	v_lshlrev_b64 v[2:3], 1, v[2:3]
	v_add_co_u32 v2, vcc_lo, s12, v2
	s_delay_alu instid0(VALU_DEP_2)
	v_add_co_ci_u32_e32 v3, vcc_lo, s13, v3, vcc_lo
	global_load_u16 v2, v[2:3], off
	s_waitcnt vmcnt(0)
	v_lshlrev_b32_e32 v9, 16, v2
.LBB51_13:
	v_cndmask_b32_e64 v19, 0, 1, s18
	s_and_not1_b32 vcc_lo, exec_lo, s18
	s_cbranch_vccnz .LBB51_15
; %bb.14:
	v_add_nc_u32_e32 v2, 1, v15
	s_xor_b32 s0, s0, -1
	s_cbranch_execz .LBB51_16
	s_branch .LBB51_17
.LBB51_15:
                                        ; implicit-def: $vgpr2
	s_xor_b32 s0, s0, -1
.LBB51_16:
	v_mul_lo_u32 v2, s2, v11
	s_delay_alu instid0(VALU_DEP_1)
	v_add3_u32 v2, v2, s2, v1
.LBB51_17:
	v_cndmask_b32_e64 v20, 0, 1, s0
	s_and_not1_b32 vcc_lo, exec_lo, s0
	s_cbranch_vccnz .LBB51_19
; %bb.18:
	v_add_nc_u32_e32 v3, 1, v16
	s_cbranch_execz .LBB51_20
	s_branch .LBB51_21
.LBB51_19:
                                        ; implicit-def: $vgpr3
.LBB51_20:
	v_add3_u32 v3, v12, s3, v1
.LBB51_21:
	v_cndmask_b32_e64 v21, 0, 1, s10
	v_dual_mov_b32 v14, 0 :: v_dual_mov_b32 v13, 0
	s_and_not1_b32 vcc_lo, exec_lo, s10
	s_cbranch_vccnz .LBB51_23
; %bb.22:
	v_dual_mov_b32 v18, 0 :: v_dual_add_nc_u32 v17, s26, v2
	s_delay_alu instid0(VALU_DEP_1) | instskip(NEXT) | instid1(VALU_DEP_1)
	v_lshlrev_b64 v[17:18], 1, v[17:18]
	v_add_co_u32 v17, vcc_lo, s6, v17
	s_delay_alu instid0(VALU_DEP_2)
	v_add_co_ci_u32_e32 v18, vcc_lo, s7, v18, vcc_lo
	global_load_u16 v2, v[17:18], off
	s_waitcnt vmcnt(0)
	v_lshlrev_b32_e32 v13, 16, v2
.LBB51_23:
	v_cndmask_b32_e64 v22, 0, 1, s9
	s_and_not1_b32 vcc_lo, exec_lo, s9
	s_cbranch_vccnz .LBB51_25
; %bb.24:
	v_dual_mov_b32 v3, 0 :: v_dual_add_nc_u32 v2, s26, v3
	s_delay_alu instid0(VALU_DEP_1) | instskip(NEXT) | instid1(VALU_DEP_1)
	v_lshlrev_b64 v[2:3], 1, v[2:3]
	v_add_co_u32 v2, vcc_lo, s12, v2
	s_delay_alu instid0(VALU_DEP_2)
	v_add_co_ci_u32_e32 v3, vcc_lo, s13, v3, vcc_lo
	global_load_u16 v2, v[2:3], off
	s_waitcnt vmcnt(0)
	v_lshlrev_b32_e32 v14, 16, v2
.LBB51_25:
	v_cmp_ne_u32_e32 vcc_lo, 1, v19
	s_cbranch_vccnz .LBB51_27
; %bb.26:
	v_add_nc_u32_e32 v2, 2, v15
	s_cbranch_execz .LBB51_28
	s_branch .LBB51_29
.LBB51_27:
                                        ; implicit-def: $vgpr2
.LBB51_28:
	v_add_nc_u32_e32 v17, 2, v11
	s_delay_alu instid0(VALU_DEP_1)
	v_mad_u64_u32 v[2:3], null, v17, s2, v[1:2]
.LBB51_29:
	v_cmp_ne_u32_e32 vcc_lo, 1, v20
	s_cbranch_vccnz .LBB51_31
; %bb.30:
	v_add_nc_u32_e32 v3, 2, v16
	s_cbranch_execz .LBB51_32
	s_branch .LBB51_33
.LBB51_31:
                                        ; implicit-def: $vgpr3
.LBB51_32:
	s_lshl_b32 s0, s3, 1
	s_delay_alu instid0(SALU_CYCLE_1)
	v_add3_u32 v3, v12, s0, v1
.LBB51_33:
	v_cmp_ne_u32_e32 vcc_lo, 1, v21
	v_dual_mov_b32 v18, 0 :: v_dual_mov_b32 v17, 0
	s_cbranch_vccnz .LBB51_35
; %bb.34:
	v_dual_mov_b32 v24, 0 :: v_dual_add_nc_u32 v23, s26, v2
	s_delay_alu instid0(VALU_DEP_1) | instskip(NEXT) | instid1(VALU_DEP_1)
	v_lshlrev_b64 v[23:24], 1, v[23:24]
	v_add_co_u32 v23, vcc_lo, s6, v23
	s_delay_alu instid0(VALU_DEP_2)
	v_add_co_ci_u32_e32 v24, vcc_lo, s7, v24, vcc_lo
	global_load_u16 v2, v[23:24], off
	s_waitcnt vmcnt(0)
	v_lshlrev_b32_e32 v17, 16, v2
.LBB51_35:
	v_cmp_ne_u32_e32 vcc_lo, 1, v22
	s_cbranch_vccnz .LBB51_37
; %bb.36:
	v_dual_mov_b32 v3, 0 :: v_dual_add_nc_u32 v2, s26, v3
	s_delay_alu instid0(VALU_DEP_1) | instskip(NEXT) | instid1(VALU_DEP_1)
	v_lshlrev_b64 v[2:3], 1, v[2:3]
	v_add_co_u32 v2, vcc_lo, s12, v2
	s_delay_alu instid0(VALU_DEP_2)
	v_add_co_ci_u32_e32 v3, vcc_lo, s13, v3, vcc_lo
	global_load_u16 v2, v[2:3], off
	s_waitcnt vmcnt(0)
	v_lshlrev_b32_e32 v18, 16, v2
.LBB51_37:
	v_cmp_ne_u32_e32 vcc_lo, 1, v19
	s_cbranch_vccnz .LBB51_39
; %bb.38:
	v_add_nc_u32_e32 v2, 3, v15
	s_cbranch_execz .LBB51_40
	s_branch .LBB51_41
.LBB51_39:
                                        ; implicit-def: $vgpr2
.LBB51_40:
	v_add_nc_u32_e32 v11, 3, v11
	s_delay_alu instid0(VALU_DEP_1)
	v_mad_u64_u32 v[2:3], null, v11, s2, v[1:2]
.LBB51_41:
	v_cmp_ne_u32_e32 vcc_lo, 1, v20
	s_cbranch_vccnz .LBB51_43
; %bb.42:
	v_add_nc_u32_e32 v3, 3, v16
	s_cbranch_execz .LBB51_44
	s_branch .LBB51_45
.LBB51_43:
                                        ; implicit-def: $vgpr3
.LBB51_44:
	s_mul_i32 s0, s3, 3
	s_delay_alu instid0(SALU_CYCLE_1)
	v_add3_u32 v3, v12, s0, v1
.LBB51_45:
	v_cmp_ne_u32_e32 vcc_lo, 1, v21
	v_dual_mov_b32 v12, 0 :: v_dual_mov_b32 v11, 0
	s_cbranch_vccnz .LBB51_47
; %bb.46:
	v_dual_mov_b32 v16, 0 :: v_dual_add_nc_u32 v15, s26, v2
	s_delay_alu instid0(VALU_DEP_1) | instskip(NEXT) | instid1(VALU_DEP_1)
	v_lshlrev_b64 v[15:16], 1, v[15:16]
	v_add_co_u32 v15, vcc_lo, s6, v15
	s_delay_alu instid0(VALU_DEP_2)
	v_add_co_ci_u32_e32 v16, vcc_lo, s7, v16, vcc_lo
	global_load_u16 v2, v[15:16], off
	s_waitcnt vmcnt(0)
	v_lshlrev_b32_e32 v11, 16, v2
.LBB51_47:
	v_cmp_ne_u32_e32 vcc_lo, 1, v22
	s_cbranch_vccnz .LBB51_49
; %bb.48:
	v_dual_mov_b32 v3, 0 :: v_dual_add_nc_u32 v2, s26, v3
	s_delay_alu instid0(VALU_DEP_1) | instskip(NEXT) | instid1(VALU_DEP_1)
	v_lshlrev_b64 v[2:3], 1, v[2:3]
	v_add_co_u32 v2, vcc_lo, s12, v2
	s_delay_alu instid0(VALU_DEP_2)
	v_add_co_ci_u32_e32 v3, vcc_lo, s13, v3, vcc_lo
	global_load_u16 v2, v[2:3], off
	s_waitcnt vmcnt(0)
	v_lshlrev_b32_e32 v12, 16, v2
.LBB51_49:
	v_mul_f32_e32 v3, s17, v9
	s_delay_alu instid0(VALU_DEP_1) | instskip(NEXT) | instid1(VALU_DEP_1)
	v_fmac_f32_e32 v3, s16, v10
	v_and_b32_e32 v2, 0x7f800000, v3
	s_delay_alu instid0(VALU_DEP_1) | instskip(SKIP_1) | instid1(SALU_CYCLE_1)
	v_cmp_ne_u32_e32 vcc_lo, 0x7f800000, v2
                                        ; implicit-def: $vgpr2
	s_and_saveexec_b32 s0, vcc_lo
	s_xor_b32 s0, exec_lo, s0
; %bb.50:
	v_bfe_u32 v2, v3, 16, 1
	s_delay_alu instid0(VALU_DEP_1)
	v_add3_u32 v2, v3, v2, 0x7fff
                                        ; implicit-def: $vgpr3
; %bb.51:
	s_and_not1_saveexec_b32 s0, s0
; %bb.52:
	v_and_b32_e32 v2, 0xffff, v3
	v_or_b32_e32 v9, 0x10000, v3
	s_delay_alu instid0(VALU_DEP_2) | instskip(NEXT) | instid1(VALU_DEP_2)
	v_cmp_eq_u32_e32 vcc_lo, 0, v2
	v_cndmask_b32_e32 v2, v9, v3, vcc_lo
; %bb.53:
	s_or_b32 exec_lo, exec_lo, s0
	s_load_b64 s[2:3], s[22:23], 0x4
	v_mul_f32_e32 v15, s17, v14
	v_bfe_u32 v10, v41, 10, 10
	v_bfe_u32 v9, v41, 20, 10
	v_lshrrev_b32_e32 v2, 16, v2
	s_delay_alu instid0(VALU_DEP_4) | instskip(NEXT) | instid1(VALU_DEP_1)
	v_fmac_f32_e32 v15, s16, v13
	v_and_b32_e32 v16, 0x7f800000, v15
	s_waitcnt lgkmcnt(0)
	s_lshr_b32 s0, s2, 16
	s_delay_alu instid0(SALU_CYCLE_1) | instskip(NEXT) | instid1(SALU_CYCLE_1)
	s_mul_i32 s0, s0, s3
	v_mul_lo_u32 v3, s0, v4
	s_mov_b32 s0, exec_lo
	s_delay_alu instid0(VALU_DEP_1) | instskip(NEXT) | instid1(VALU_DEP_1)
	v_mad_u32_u24 v13, v10, s3, v3
	v_add_lshl_u32 v14, v13, v9, 3
                                        ; implicit-def: $vgpr13
	ds_store_b16 v14, v2
	v_cmpx_ne_u32_e32 0x7f800000, v16
	s_xor_b32 s0, exec_lo, s0
; %bb.54:
	v_bfe_u32 v13, v15, 16, 1
	s_delay_alu instid0(VALU_DEP_1)
	v_add3_u32 v13, v15, v13, 0x7fff
                                        ; implicit-def: $vgpr15
; %bb.55:
	s_and_not1_saveexec_b32 s0, s0
; %bb.56:
	v_and_b32_e32 v13, 0xffff, v15
	v_or_b32_e32 v16, 0x10000, v15
	s_delay_alu instid0(VALU_DEP_2) | instskip(NEXT) | instid1(VALU_DEP_2)
	v_cmp_eq_u32_e32 vcc_lo, 0, v13
	v_cndmask_b32_e32 v13, v16, v15, vcc_lo
; %bb.57:
	s_or_b32 exec_lo, exec_lo, s0
	v_mul_f32_e32 v15, s17, v18
	s_delay_alu instid0(VALU_DEP_2) | instskip(NEXT) | instid1(VALU_DEP_2)
	v_lshrrev_b32_e32 v13, 16, v13
	v_fmac_f32_e32 v15, s16, v17
	ds_store_b16 v14, v13 offset:2
	v_and_b32_e32 v16, 0x7f800000, v15
	s_delay_alu instid0(VALU_DEP_1) | instskip(SKIP_1) | instid1(SALU_CYCLE_1)
	v_cmp_ne_u32_e32 vcc_lo, 0x7f800000, v16
                                        ; implicit-def: $vgpr16
	s_and_saveexec_b32 s0, vcc_lo
	s_xor_b32 s0, exec_lo, s0
; %bb.58:
	v_bfe_u32 v16, v15, 16, 1
	s_delay_alu instid0(VALU_DEP_1)
	v_add3_u32 v16, v15, v16, 0x7fff
                                        ; implicit-def: $vgpr15
; %bb.59:
	s_and_not1_saveexec_b32 s0, s0
; %bb.60:
	v_and_b32_e32 v16, 0xffff, v15
	v_or_b32_e32 v17, 0x10000, v15
	s_delay_alu instid0(VALU_DEP_2) | instskip(NEXT) | instid1(VALU_DEP_2)
	v_cmp_eq_u32_e32 vcc_lo, 0, v16
	v_cndmask_b32_e32 v16, v17, v15, vcc_lo
; %bb.61:
	s_or_b32 exec_lo, exec_lo, s0
	v_mul_f32_e32 v12, s17, v12
	s_delay_alu instid0(VALU_DEP_1) | instskip(NEXT) | instid1(VALU_DEP_3)
	v_fmac_f32_e32 v12, s16, v11
	v_lshrrev_b32_e32 v11, 16, v16
	s_delay_alu instid0(VALU_DEP_2) | instskip(SKIP_3) | instid1(SALU_CYCLE_1)
	v_and_b32_e32 v15, 0x7f800000, v12
	ds_store_b16 v14, v11 offset:4
	v_cmp_ne_u32_e32 vcc_lo, 0x7f800000, v15
                                        ; implicit-def: $vgpr15
	s_and_saveexec_b32 s0, vcc_lo
	s_xor_b32 s0, exec_lo, s0
; %bb.62:
	v_bfe_u32 v15, v12, 16, 1
	s_delay_alu instid0(VALU_DEP_1)
	v_add3_u32 v15, v12, v15, 0x7fff
                                        ; implicit-def: $vgpr12
; %bb.63:
	s_and_not1_saveexec_b32 s0, s0
; %bb.64:
	v_and_b32_e32 v15, 0xffff, v12
	v_or_b32_e32 v16, 0x10000, v12
	s_delay_alu instid0(VALU_DEP_2) | instskip(NEXT) | instid1(VALU_DEP_2)
	v_cmp_eq_u32_e32 vcc_lo, 0, v15
	v_cndmask_b32_e32 v15, v16, v12, vcc_lo
; %bb.65:
	s_or_b32 exec_lo, exec_lo, s0
	s_delay_alu instid0(VALU_DEP_1)
	v_lshrrev_b32_e32 v12, 16, v15
	s_mov_b32 s0, exec_lo
	ds_store_b16 v14, v12 offset:6
	v_cmpx_ge_u32_e64 s1, v7
	s_xor_b32 s0, exec_lo, s0
	s_cbranch_execz .LBB51_67
; %bb.66:
	v_mul_lo_u32 v1, v1, s8
                                        ; implicit-def: $vgpr9
                                        ; implicit-def: $vgpr10
	s_delay_alu instid0(VALU_DEP_1) | instskip(NEXT) | instid1(VALU_DEP_1)
	v_add3_u32 v0, v0, s26, v1
	v_sub_nc_u32_e32 v0, v0, v8
	v_mov_b32_e32 v1, 0
	s_delay_alu instid0(VALU_DEP_2) | instskip(NEXT) | instid1(VALU_DEP_2)
	v_add_nc_u32_e32 v3, 1, v0
	v_lshlrev_b64 v[7:8], 1, v[0:1]
	v_add_nc_u32_e32 v5, 2, v0
	v_add_nc_u32_e32 v0, 3, v0
	v_mov_b32_e32 v4, v1
	v_mov_b32_e32 v6, v1
	v_add_co_u32 v7, vcc_lo, s4, v7
	s_delay_alu instid0(VALU_DEP_3) | instskip(NEXT) | instid1(VALU_DEP_3)
	v_lshlrev_b64 v[3:4], 1, v[3:4]
	v_lshlrev_b64 v[5:6], 1, v[5:6]
	v_add_co_ci_u32_e32 v8, vcc_lo, s5, v8, vcc_lo
	v_lshlrev_b64 v[0:1], 1, v[0:1]
	s_delay_alu instid0(VALU_DEP_4)
	v_add_co_u32 v3, vcc_lo, s4, v3
	v_add_co_ci_u32_e32 v4, vcc_lo, s5, v4, vcc_lo
	v_add_co_u32 v5, vcc_lo, s4, v5
	v_add_co_ci_u32_e32 v6, vcc_lo, s5, v6, vcc_lo
	v_add_co_u32 v0, vcc_lo, s4, v0
	v_add_co_ci_u32_e32 v1, vcc_lo, s5, v1, vcc_lo
	s_clause 0x3
	global_store_b16 v[7:8], v2, off
	global_store_b16 v[3:4], v13, off
	;; [unrolled: 1-line block ×4, first 2 shown]
                                        ; implicit-def: $vgpr4
                                        ; implicit-def: $vgpr5
                                        ; implicit-def: $vgpr6
                                        ; implicit-def: $vgpr0
                                        ; implicit-def: $vgpr7
                                        ; implicit-def: $vgpr8
                                        ; implicit-def: $vgpr3
.LBB51_67:
	s_and_not1_saveexec_b32 s0, s0
	s_cbranch_execz .LBB51_71
; %bb.68:
	v_cmp_gt_u32_e32 vcc_lo, 4, v8
	s_and_b32 exec_lo, exec_lo, vcc_lo
	s_cbranch_execz .LBB51_71
; %bb.69:
	v_mul_u32_u24_e32 v1, s3, v10
	v_lshrrev_b32_e32 v2, 4, v4
	v_min_u32_e32 v4, s1, v7
	s_lshl_b32 s0, s15, 4
	s_add_i32 s11, s11, s26
	s_mov_b32 s1, 0
	v_add3_u32 v1, v1, v9, v2
	v_lshl_or_b32 v2, s21, 4, v5
	v_sub_nc_u32_e32 v0, v0, v4
	s_delay_alu instid0(VALU_DEP_3) | instskip(NEXT) | instid1(VALU_DEP_3)
	v_add_lshl_u32 v1, v1, v3, 3
	v_subrev_nc_u32_e32 v2, s0, v2
	v_lshlrev_b32_e32 v3, 1, v4
	s_delay_alu instid0(VALU_DEP_3) | instskip(NEXT) | instid1(VALU_DEP_3)
	v_lshl_add_u32 v1, s14, 7, v1
	v_mul_lo_u32 v5, s8, v2
	v_add_nc_u32_e32 v2, 3, v0
	s_delay_alu instid0(VALU_DEP_3) | instskip(NEXT) | instid1(VALU_DEP_3)
	v_sub_nc_u32_e32 v1, v1, v3
	v_add3_u32 v0, s11, v5, v6
	s_delay_alu instid0(VALU_DEP_2)
	v_add_nc_u32_e32 v3, 8, v1
	v_mov_b32_e32 v1, 0
	.p2align	6
.LBB51_70:                              ; =>This Inner Loop Header: Depth=1
	ds_load_u16 v6, v3
	v_lshlrev_b64 v[4:5], 1, v[0:1]
	v_add_nc_u32_e32 v2, 1, v2
	v_add_nc_u32_e32 v0, 1, v0
	;; [unrolled: 1-line block ×3, first 2 shown]
	s_delay_alu instid0(VALU_DEP_3) | instskip(SKIP_1) | instid1(VALU_DEP_1)
	v_cmp_lt_u32_e32 vcc_lo, 2, v2
	v_add_co_u32 v4, s0, s4, v4
	v_add_co_ci_u32_e64 v5, s0, s5, v5, s0
	s_or_b32 s1, vcc_lo, s1
	s_waitcnt lgkmcnt(0)
	global_store_b16 v[4:5], v6, off
	s_and_not1_b32 exec_lo, exec_lo, s1
	s_cbranch_execnz .LBB51_70
.LBB51_71:
	s_endpgm
	.section	.rodata,"a",@progbits
	.p2align	6, 0x0
	.amdhsa_kernel Transform_BF16_S_111_16_16_VW_4
		.amdhsa_group_segment_fixed_size 8192
		.amdhsa_private_segment_fixed_size 64
		.amdhsa_kernarg_size 344
		.amdhsa_user_sgpr_count 14
		.amdhsa_user_sgpr_dispatch_ptr 1
		.amdhsa_user_sgpr_queue_ptr 0
		.amdhsa_user_sgpr_kernarg_segment_ptr 1
		.amdhsa_user_sgpr_dispatch_id 0
		.amdhsa_user_sgpr_private_segment_size 0
		.amdhsa_wavefront_size32 1
		.amdhsa_uses_dynamic_stack 0
		.amdhsa_enable_private_segment 1
		.amdhsa_system_sgpr_workgroup_id_x 1
		.amdhsa_system_sgpr_workgroup_id_y 0
		.amdhsa_system_sgpr_workgroup_id_z 1
		.amdhsa_system_sgpr_workgroup_info 0
		.amdhsa_system_vgpr_workitem_id 2
		.amdhsa_next_free_vgpr 42
		.amdhsa_next_free_sgpr 34
		.amdhsa_reserve_vcc 1
		.amdhsa_float_round_mode_32 0
		.amdhsa_float_round_mode_16_64 0
		.amdhsa_float_denorm_mode_32 3
		.amdhsa_float_denorm_mode_16_64 3
		.amdhsa_dx10_clamp 1
		.amdhsa_ieee_mode 1
		.amdhsa_fp16_overflow 0
		.amdhsa_workgroup_processor_mode 1
		.amdhsa_memory_ordered 1
		.amdhsa_forward_progress 0
		.amdhsa_shared_vgpr_count 0
		.amdhsa_exception_fp_ieee_invalid_op 0
		.amdhsa_exception_fp_denorm_src 0
		.amdhsa_exception_fp_ieee_div_zero 0
		.amdhsa_exception_fp_ieee_overflow 0
		.amdhsa_exception_fp_ieee_underflow 0
		.amdhsa_exception_fp_ieee_inexact 0
		.amdhsa_exception_int_div_zero 0
	.end_amdhsa_kernel
	.text
.Lfunc_end51:
	.size	Transform_BF16_S_111_16_16_VW_4, .Lfunc_end51-Transform_BF16_S_111_16_16_VW_4
                                        ; -- End function
	.section	.AMDGPU.csdata,"",@progbits
; Kernel info:
; codeLenInByte = 2332
; NumSgprs: 36
; NumVgprs: 42
; ScratchSize: 64
; MemoryBound: 0
; FloatMode: 240
; IeeeMode: 1
; LDSByteSize: 8192 bytes/workgroup (compile time only)
; SGPRBlocks: 4
; VGPRBlocks: 5
; NumSGPRsForWavesPerEU: 36
; NumVGPRsForWavesPerEU: 42
; Occupancy: 16
; WaveLimiterHint : 1
; COMPUTE_PGM_RSRC2:SCRATCH_EN: 1
; COMPUTE_PGM_RSRC2:USER_SGPR: 14
; COMPUTE_PGM_RSRC2:TRAP_HANDLER: 0
; COMPUTE_PGM_RSRC2:TGID_X_EN: 1
; COMPUTE_PGM_RSRC2:TGID_Y_EN: 0
; COMPUTE_PGM_RSRC2:TGID_Z_EN: 1
; COMPUTE_PGM_RSRC2:TIDIG_COMP_CNT: 2
	.text
	.protected	Transform_BF16_S_110_16_16_VW_1 ; -- Begin function Transform_BF16_S_110_16_16_VW_1
	.globl	Transform_BF16_S_110_16_16_VW_1
	.p2align	8
	.type	Transform_BF16_S_110_16_16_VW_1,@function
Transform_BF16_S_110_16_16_VW_1:        ; @Transform_BF16_S_110_16_16_VW_1
; %bb.0:
	s_mov_b64 s[22:23], s[0:1]
	s_load_b32 s0, s[0:1], 0x64
	v_mov_b32_e32 v41, v0
	s_mov_b32 s21, s15
	s_mov_b32 s24, s14
	;; [unrolled: 1-line block ×3, first 2 shown]
	s_waitcnt lgkmcnt(0)
	v_cmp_eq_u16_e64 s0, 0x100, s0
	s_delay_alu instid0(VALU_DEP_1)
	s_and_b32 vcc_lo, exec_lo, s0
	s_mov_b32 s0, -1
	s_cbranch_vccnz .LBB52_2
; %bb.1:
	s_add_u32 s8, s22, 0x58
	s_addc_u32 s9, s23, 0
	s_getpc_b64 s[0:1]
	s_add_u32 s0, s0, __PRETTY_FUNCTION__._ZN10amd_detail9transformI12hip_bfloat16fLb1ELb1ELb0ELj16ELj16ELj1EEEvPT_PKS2_S5_T0_PKS6_S6_S8_jjjjjjbb@rel32@lo+4
	s_addc_u32 s1, s1, __PRETTY_FUNCTION__._ZN10amd_detail9transformI12hip_bfloat16fLb1ELb1ELb0ELj16ELj16ELj1EEEvPT_PKS2_S5_T0_PKS6_S6_S8_jjjjjjbb@rel32@hi+12
	s_delay_alu instid0(SALU_CYCLE_1) | instskip(SKIP_3) | instid1(SALU_CYCLE_1)
	v_dual_mov_b32 v0, s0 :: v_dual_mov_b32 v1, s1
	s_getpc_b64 s[2:3]
	s_add_u32 s2, s2, __assert_fail@rel32@lo+4
	s_addc_u32 s3, s3, __assert_fail@rel32@hi+12
	s_swappc_b64 s[30:31], s[2:3]
	; divergent unreachable
	s_mov_b32 s0, 0
.LBB52_2:
	s_delay_alu instid0(SALU_CYCLE_1)
	s_and_not1_b32 vcc_lo, exec_lo, s0
	s_cbranch_vccnz .LBB52_18
; %bb.3:
	s_load_b256 s[0:7], s[22:23], 0x38
	s_waitcnt lgkmcnt(0)
	s_and_b32 s7, s0, 15
	s_lshr_b32 s8, s0, 4
	s_cmp_lg_u32 s7, 0
	s_cselect_b32 s7, -1, 0
	s_delay_alu instid0(SALU_CYCLE_1) | instskip(SKIP_4) | instid1(VALU_DEP_1)
	s_cmp_lg_u32 s7, 0
	s_addc_u32 s10, s8, 0
	s_load_b64 s[8:9], s[22:23], 0x20
	v_cvt_f32_u32_e32 v0, s10
	s_sub_i32 s11, 0, s10
	v_rcp_iflag_f32_e32 v0, v0
	s_waitcnt_depctr 0xfff
	v_mul_f32_e32 v0, 0x4f7ffffe, v0
	s_delay_alu instid0(VALU_DEP_1) | instskip(NEXT) | instid1(VALU_DEP_1)
	v_cvt_u32_f32_e32 v0, v0
	v_readfirstlane_b32 s7, v0
	s_delay_alu instid0(VALU_DEP_1) | instskip(NEXT) | instid1(SALU_CYCLE_1)
	s_mul_i32 s11, s11, s7
	s_mul_hi_u32 s11, s7, s11
	s_delay_alu instid0(SALU_CYCLE_1)
	s_add_i32 s7, s7, s11
	s_waitcnt lgkmcnt(0)
	s_cmp_eq_u64 s[8:9], 0
	s_mul_hi_u32 s11, s24, s7
	s_cbranch_scc1 .LBB52_6
; %bb.4:
	s_load_b32 s7, s[8:9], 0x0
	s_load_b64 s[8:9], s[22:23], 0x30
	s_waitcnt lgkmcnt(0)
	s_cmp_eq_u64 s[8:9], 0
	s_cbranch_scc1 .LBB52_7
.LBB52_5:
	s_load_b32 s12, s[8:9], 0x0
	s_branch .LBB52_8
.LBB52_6:
	s_clause 0x1
	s_load_b32 s7, s[22:23], 0x18
	s_load_b64 s[8:9], s[22:23], 0x30
	s_waitcnt lgkmcnt(0)
	s_cmp_eq_u64 s[8:9], 0
	s_cbranch_scc0 .LBB52_5
.LBB52_7:
	s_load_b32 s12, s[22:23], 0x28
.LBB52_8:
	s_mul_i32 s8, s11, s10
	s_add_i32 s9, s11, 1
	s_sub_i32 s8, s24, s8
	v_and_b32_e32 v0, 15, v41
	s_sub_i32 s13, s8, s10
	s_cmp_ge_u32 s8, s10
	v_lshrrev_b32_e32 v1, 4, v41
	s_cselect_b32 s9, s9, s11
	s_cselect_b32 s8, s13, s8
	s_add_i32 s11, s9, 1
	s_cmp_ge_u32 s8, s10
	s_cselect_b32 s8, s11, s9
	s_delay_alu instid0(SALU_CYCLE_1) | instskip(SKIP_2) | instid1(SALU_CYCLE_1)
	s_mul_i32 s9, s8, s10
	v_lshl_add_u32 v1, s8, 4, v1
	s_sub_i32 s9, s24, s9
	v_lshl_or_b32 v0, s9, 4, v0
	s_delay_alu instid0(VALU_DEP_1) | instskip(NEXT) | instid1(VALU_DEP_3)
	v_cmp_gt_u32_e32 vcc_lo, s0, v0
	v_cmp_gt_u32_e64 s0, s1, v1
	s_delay_alu instid0(VALU_DEP_1) | instskip(NEXT) | instid1(SALU_CYCLE_1)
	s_and_b32 s0, vcc_lo, s0
	s_and_saveexec_b32 s1, s0
	s_cbranch_execz .LBB52_18
; %bb.9:
	s_clause 0x1
	s_load_b128 s[8:11], s[22:23], 0x0
	s_load_b64 s[0:1], s[22:23], 0x10
	v_dual_mov_b32 v3, 0 :: v_dual_mov_b32 v2, 0
	s_mul_i32 s21, s21, s5
	s_waitcnt lgkmcnt(0)
	s_cmp_eq_u64 s[10:11], 0
	s_cbranch_scc1 .LBB52_11
; %bb.10:
	s_bitcmp1_b32 s6, 0
	v_mov_b32_e32 v5, 0
	s_cselect_b32 vcc_lo, -1, 0
	v_cndmask_b32_e32 v2, v0, v1, vcc_lo
	v_cndmask_b32_e32 v4, v1, v0, vcc_lo
	s_delay_alu instid0(VALU_DEP_2) | instskip(NEXT) | instid1(VALU_DEP_1)
	v_mul_lo_u32 v2, v2, s2
	v_add3_u32 v4, v4, s21, v2
	s_delay_alu instid0(VALU_DEP_1) | instskip(NEXT) | instid1(VALU_DEP_1)
	v_lshlrev_b64 v[4:5], 1, v[4:5]
	v_add_co_u32 v4, vcc_lo, s10, v4
	s_delay_alu instid0(VALU_DEP_2)
	v_add_co_ci_u32_e32 v5, vcc_lo, s11, v5, vcc_lo
	global_load_u16 v2, v[4:5], off
	s_waitcnt vmcnt(0)
	v_lshlrev_b32_e32 v2, 16, v2
.LBB52_11:
	s_cmp_eq_u64 s[0:1], 0
	s_cbranch_scc1 .LBB52_13
; %bb.12:
	s_load_b32 s2, s[22:23], 0x50
	v_mov_b32_e32 v4, 0
	s_waitcnt lgkmcnt(0)
	s_bitcmp1_b32 s2, 8
	s_cselect_b32 vcc_lo, -1, 0
	v_cndmask_b32_e32 v3, v0, v1, vcc_lo
	v_cndmask_b32_e32 v5, v1, v0, vcc_lo
	s_delay_alu instid0(VALU_DEP_2) | instskip(NEXT) | instid1(VALU_DEP_1)
	v_mul_lo_u32 v3, v3, s3
	v_add3_u32 v3, v5, s21, v3
	s_delay_alu instid0(VALU_DEP_1) | instskip(NEXT) | instid1(VALU_DEP_1)
	v_lshlrev_b64 v[3:4], 1, v[3:4]
	v_add_co_u32 v3, vcc_lo, s0, v3
	s_delay_alu instid0(VALU_DEP_2)
	v_add_co_ci_u32_e32 v4, vcc_lo, s1, v4, vcc_lo
	global_load_u16 v3, v[3:4], off
	s_waitcnt vmcnt(0)
	v_lshlrev_b32_e32 v3, 16, v3
.LBB52_13:
	s_delay_alu instid0(VALU_DEP_1) | instskip(NEXT) | instid1(VALU_DEP_1)
	v_mul_f32_e32 v3, s12, v3
	v_fmac_f32_e32 v3, s7, v2
	s_delay_alu instid0(VALU_DEP_1) | instskip(NEXT) | instid1(VALU_DEP_1)
	v_and_b32_e32 v2, 0x7f800000, v3
	v_cmp_ne_u32_e32 vcc_lo, 0x7f800000, v2
                                        ; implicit-def: $vgpr2
	s_and_saveexec_b32 s0, vcc_lo
	s_delay_alu instid0(SALU_CYCLE_1)
	s_xor_b32 s0, exec_lo, s0
; %bb.14:
	v_bfe_u32 v2, v3, 16, 1
	s_delay_alu instid0(VALU_DEP_1)
	v_add3_u32 v2, v3, v2, 0x7fff
                                        ; implicit-def: $vgpr3
; %bb.15:
	s_and_not1_saveexec_b32 s0, s0
; %bb.16:
	v_and_b32_e32 v2, 0xffff, v3
	v_or_b32_e32 v4, 0x10000, v3
	s_delay_alu instid0(VALU_DEP_2) | instskip(NEXT) | instid1(VALU_DEP_2)
	v_cmp_eq_u32_e32 vcc_lo, 0, v2
	v_cndmask_b32_e32 v2, v4, v3, vcc_lo
; %bb.17:
	s_or_b32 exec_lo, exec_lo, s0
	v_mul_lo_u32 v3, v1, s4
	v_mov_b32_e32 v1, 0
	s_delay_alu instid0(VALU_DEP_2) | instskip(NEXT) | instid1(VALU_DEP_1)
	v_add3_u32 v0, v0, s21, v3
	v_lshlrev_b64 v[0:1], 1, v[0:1]
	s_delay_alu instid0(VALU_DEP_1) | instskip(NEXT) | instid1(VALU_DEP_2)
	v_add_co_u32 v0, vcc_lo, s8, v0
	v_add_co_ci_u32_e32 v1, vcc_lo, s9, v1, vcc_lo
	global_store_d16_hi_b16 v[0:1], v2, off
.LBB52_18:
	s_endpgm
	.section	.rodata,"a",@progbits
	.p2align	6, 0x0
	.amdhsa_kernel Transform_BF16_S_110_16_16_VW_1
		.amdhsa_group_segment_fixed_size 0
		.amdhsa_private_segment_fixed_size 64
		.amdhsa_kernarg_size 344
		.amdhsa_user_sgpr_count 14
		.amdhsa_user_sgpr_dispatch_ptr 0
		.amdhsa_user_sgpr_queue_ptr 0
		.amdhsa_user_sgpr_kernarg_segment_ptr 1
		.amdhsa_user_sgpr_dispatch_id 0
		.amdhsa_user_sgpr_private_segment_size 0
		.amdhsa_wavefront_size32 1
		.amdhsa_uses_dynamic_stack 0
		.amdhsa_enable_private_segment 1
		.amdhsa_system_sgpr_workgroup_id_x 1
		.amdhsa_system_sgpr_workgroup_id_y 0
		.amdhsa_system_sgpr_workgroup_id_z 1
		.amdhsa_system_sgpr_workgroup_info 0
		.amdhsa_system_vgpr_workitem_id 0
		.amdhsa_next_free_vgpr 42
		.amdhsa_next_free_sgpr 34
		.amdhsa_reserve_vcc 1
		.amdhsa_float_round_mode_32 0
		.amdhsa_float_round_mode_16_64 0
		.amdhsa_float_denorm_mode_32 3
		.amdhsa_float_denorm_mode_16_64 3
		.amdhsa_dx10_clamp 1
		.amdhsa_ieee_mode 1
		.amdhsa_fp16_overflow 0
		.amdhsa_workgroup_processor_mode 1
		.amdhsa_memory_ordered 1
		.amdhsa_forward_progress 0
		.amdhsa_shared_vgpr_count 0
		.amdhsa_exception_fp_ieee_invalid_op 0
		.amdhsa_exception_fp_denorm_src 0
		.amdhsa_exception_fp_ieee_div_zero 0
		.amdhsa_exception_fp_ieee_overflow 0
		.amdhsa_exception_fp_ieee_underflow 0
		.amdhsa_exception_fp_ieee_inexact 0
		.amdhsa_exception_int_div_zero 0
	.end_amdhsa_kernel
	.text
.Lfunc_end52:
	.size	Transform_BF16_S_110_16_16_VW_1, .Lfunc_end52-Transform_BF16_S_110_16_16_VW_1
                                        ; -- End function
	.section	.AMDGPU.csdata,"",@progbits
; Kernel info:
; codeLenInByte = 848
; NumSgprs: 36
; NumVgprs: 42
; ScratchSize: 64
; MemoryBound: 0
; FloatMode: 240
; IeeeMode: 1
; LDSByteSize: 0 bytes/workgroup (compile time only)
; SGPRBlocks: 4
; VGPRBlocks: 5
; NumSGPRsForWavesPerEU: 36
; NumVGPRsForWavesPerEU: 42
; Occupancy: 16
; WaveLimiterHint : 1
; COMPUTE_PGM_RSRC2:SCRATCH_EN: 1
; COMPUTE_PGM_RSRC2:USER_SGPR: 14
; COMPUTE_PGM_RSRC2:TRAP_HANDLER: 0
; COMPUTE_PGM_RSRC2:TGID_X_EN: 1
; COMPUTE_PGM_RSRC2:TGID_Y_EN: 0
; COMPUTE_PGM_RSRC2:TGID_Z_EN: 1
; COMPUTE_PGM_RSRC2:TIDIG_COMP_CNT: 0
	.text
	.protected	Transform_BF16_S_110_16_16_VW_4 ; -- Begin function Transform_BF16_S_110_16_16_VW_4
	.globl	Transform_BF16_S_110_16_16_VW_4
	.p2align	8
	.type	Transform_BF16_S_110_16_16_VW_4,@function
Transform_BF16_S_110_16_16_VW_4:        ; @Transform_BF16_S_110_16_16_VW_4
; %bb.0:
	s_mov_b64 s[22:23], s[0:1]
	s_load_b32 s0, s[2:3], 0x64
	v_mov_b32_e32 v41, v0
	s_mov_b32 s26, s15
	s_mov_b64 s[24:25], s[2:3]
	s_mov_b32 s21, s14
	s_mov_b32 s32, 0
	s_waitcnt lgkmcnt(0)
	v_cmp_eq_u16_e64 s0, 0x100, s0
	s_delay_alu instid0(VALU_DEP_1)
	s_and_b32 vcc_lo, exec_lo, s0
	s_mov_b32 s0, -1
	s_cbranch_vccnz .LBB53_2
; %bb.1:
	s_add_u32 s8, s24, 0x58
	s_addc_u32 s9, s25, 0
	s_getpc_b64 s[0:1]
	s_add_u32 s0, s0, __PRETTY_FUNCTION__._ZN10amd_detail9transformI12hip_bfloat16fLb1ELb1ELb0ELj16ELj16ELj4EEEvPT_PKS2_S5_T0_PKS6_S6_S8_jjjjjjbb@rel32@lo+4
	s_addc_u32 s1, s1, __PRETTY_FUNCTION__._ZN10amd_detail9transformI12hip_bfloat16fLb1ELb1ELb0ELj16ELj16ELj4EEEvPT_PKS2_S5_T0_PKS6_S6_S8_jjjjjjbb@rel32@hi+12
	s_delay_alu instid0(SALU_CYCLE_1) | instskip(SKIP_3) | instid1(SALU_CYCLE_1)
	v_dual_mov_b32 v0, s0 :: v_dual_mov_b32 v1, s1
	s_getpc_b64 s[2:3]
	s_add_u32 s2, s2, __assert_fail@rel32@lo+4
	s_addc_u32 s3, s3, __assert_fail@rel32@hi+12
	s_swappc_b64 s[30:31], s[2:3]
	; divergent unreachable
	s_mov_b32 s0, 0
.LBB53_2:
	s_delay_alu instid0(SALU_CYCLE_1)
	s_and_not1_b32 vcc_lo, exec_lo, s0
	s_cbranch_vccnz .LBB53_71
; %bb.3:
	s_load_b256 s[4:11], s[24:25], 0x38
	s_waitcnt lgkmcnt(0)
	s_and_b32 s0, s4, 63
	s_lshr_b32 s1, s4, 6
	s_cmp_lg_u32 s0, 0
	s_cselect_b32 s0, -1, 0
	s_delay_alu instid0(SALU_CYCLE_1) | instskip(SKIP_4) | instid1(VALU_DEP_1)
	s_cmp_lg_u32 s0, 0
	s_addc_u32 s2, s1, 0
	s_load_b64 s[0:1], s[24:25], 0x20
	v_cvt_f32_u32_e32 v0, s2
	s_sub_i32 s11, 0, s2
	v_rcp_iflag_f32_e32 v0, v0
	s_waitcnt_depctr 0xfff
	v_mul_f32_e32 v0, 0x4f7ffffe, v0
	s_delay_alu instid0(VALU_DEP_1) | instskip(NEXT) | instid1(VALU_DEP_1)
	v_cvt_u32_f32_e32 v0, v0
	v_readfirstlane_b32 s3, v0
	s_delay_alu instid0(VALU_DEP_1) | instskip(NEXT) | instid1(SALU_CYCLE_1)
	s_mul_i32 s11, s11, s3
	s_mul_hi_u32 s11, s3, s11
	s_delay_alu instid0(SALU_CYCLE_1)
	s_add_i32 s3, s3, s11
	s_waitcnt lgkmcnt(0)
	s_cmp_eq_u64 s[0:1], 0
	s_mul_hi_u32 s3, s21, s3
	s_cbranch_scc1 .LBB53_6
; %bb.4:
	s_load_b32 s11, s[0:1], 0x0
	s_load_b64 s[0:1], s[24:25], 0x30
	s_waitcnt lgkmcnt(0)
	s_cmp_eq_u64 s[0:1], 0
	s_cbranch_scc1 .LBB53_7
.LBB53_5:
	s_load_b32 s16, s[0:1], 0x0
	s_branch .LBB53_8
.LBB53_6:
	s_clause 0x1
	s_load_b32 s11, s[24:25], 0x18
	s_load_b64 s[0:1], s[24:25], 0x30
	s_waitcnt lgkmcnt(0)
	s_cmp_eq_u64 s[0:1], 0
	s_cbranch_scc0 .LBB53_5
.LBB53_7:
	s_load_b32 s16, s[24:25], 0x28
.LBB53_8:
	s_mul_i32 s0, s3, s2
	v_and_b32_e32 v8, 0x3ff, v41
	s_sub_i32 s0, s21, s0
	s_add_i32 s1, s3, 1
	s_sub_i32 s12, s0, s2
	s_cmp_ge_u32 s0, s2
	v_lshrrev_b32_e32 v0, 4, v8
	s_cselect_b32 s1, s1, s3
	s_cselect_b32 s0, s12, s0
	s_add_i32 s3, s1, 1
	s_cmp_ge_u32 s0, s2
	s_cselect_b32 s0, s3, s1
	s_mov_b32 s1, exec_lo
	v_lshl_add_u32 v0, s0, 4, v0
	s_delay_alu instid0(VALU_DEP_1)
	v_cmpx_gt_u32_e64 s5, v0
	s_cbranch_execz .LBB53_71
; %bb.9:
	v_dual_mov_b32 v14, 0 :: v_dual_lshlrev_b32 v1, 2, v8
	s_mul_i32 s5, s0, s2
	s_clause 0x1
	s_load_b128 s[12:15], s[24:25], 0x0
	s_load_b64 s[2:3], s[24:25], 0x10
	v_and_b32_e32 v9, 60, v1
	s_sub_i32 s0, s21, s5
	s_bitcmp1_b32 s10, 0
	s_mul_i32 s26, s26, s9
	s_cselect_b32 vcc_lo, -1, 0
	v_lshl_or_b32 v11, s0, 6, v9
	s_delay_alu instid0(VALU_DEP_1) | instskip(NEXT) | instid1(VALU_DEP_1)
	v_dual_mov_b32 v13, 0 :: v_dual_add_nc_u32 v12, 4, v11
	v_sub_nc_u32_e64 v10, v12, s4 clamp
	s_waitcnt lgkmcnt(0)
	s_cmp_lg_u64 s[14:15], 0
	s_cselect_b32 s1, -1, 0
	s_delay_alu instid0(VALU_DEP_1) | instskip(SKIP_1) | instid1(VALU_DEP_1)
	v_sub_nc_u32_e32 v4, v11, v10
	s_cmp_eq_u64 s[14:15], 0
	v_mad_u64_u32 v[1:2], null, v0, s6, v[4:5]
	s_cbranch_scc1 .LBB53_11
; %bb.10:
	s_delay_alu instid0(VALU_DEP_1) | instskip(NEXT) | instid1(VALU_DEP_1)
	v_mad_u64_u32 v[2:3], null, v4, s6, v[0:1]
	v_dual_mov_b32 v3, 0 :: v_dual_cndmask_b32 v2, v2, v1
	s_delay_alu instid0(VALU_DEP_1) | instskip(NEXT) | instid1(VALU_DEP_1)
	v_add_nc_u32_e32 v2, s26, v2
	v_lshlrev_b64 v[2:3], 1, v[2:3]
	s_delay_alu instid0(VALU_DEP_1) | instskip(NEXT) | instid1(VALU_DEP_1)
	v_add_co_u32 v2, s0, s14, v2
	v_add_co_ci_u32_e64 v3, s0, s15, v3, s0
	global_load_u16 v2, v[2:3], off
	s_waitcnt vmcnt(0)
	v_lshlrev_b32_e32 v13, 16, v2
.LBB53_11:
	s_load_b32 s0, s[24:25], 0x50
	v_mad_u64_u32 v[2:3], null, v0, s7, v[4:5]
	s_xor_b32 s10, vcc_lo, -1
	s_waitcnt lgkmcnt(0)
	s_bitcmp1_b32 s0, 8
	s_cselect_b32 s0, -1, 0
	s_cmp_lg_u64 s[2:3], 0
	s_cselect_b32 s9, -1, 0
	s_cmp_eq_u64 s[2:3], 0
	s_cbranch_scc1 .LBB53_13
; %bb.12:
	v_mad_u64_u32 v[5:6], null, v4, s7, v[0:1]
	s_delay_alu instid0(VALU_DEP_1) | instskip(NEXT) | instid1(VALU_DEP_1)
	v_cndmask_b32_e64 v3, v5, v2, s0
	v_dual_mov_b32 v6, 0 :: v_dual_add_nc_u32 v5, s26, v3
	s_delay_alu instid0(VALU_DEP_1) | instskip(NEXT) | instid1(VALU_DEP_1)
	v_lshlrev_b64 v[5:6], 1, v[5:6]
	v_add_co_u32 v5, vcc_lo, s2, v5
	s_delay_alu instid0(VALU_DEP_2)
	v_add_co_ci_u32_e32 v6, vcc_lo, s3, v6, vcc_lo
	global_load_u16 v3, v[5:6], off
	s_waitcnt vmcnt(0)
	v_lshlrev_b32_e32 v14, 16, v3
.LBB53_13:
	v_cndmask_b32_e64 v3, 0, 1, s10
	s_and_not1_b32 vcc_lo, exec_lo, s10
	s_cbranch_vccnz .LBB53_15
; %bb.14:
	v_mul_lo_u32 v5, s6, v4
	s_delay_alu instid0(VALU_DEP_1)
	v_add3_u32 v5, v5, s6, v0
	s_xor_b32 s0, s0, -1
	s_cbranch_execz .LBB53_16
	s_branch .LBB53_17
.LBB53_15:
                                        ; implicit-def: $vgpr5
	s_xor_b32 s0, s0, -1
.LBB53_16:
	v_add_nc_u32_e32 v5, 1, v1
.LBB53_17:
	v_cndmask_b32_e64 v18, 0, 1, s0
	s_and_not1_b32 vcc_lo, exec_lo, s0
	s_cbranch_vccnz .LBB53_19
; %bb.18:
	v_mul_lo_u32 v6, s7, v4
	s_delay_alu instid0(VALU_DEP_1)
	v_add3_u32 v6, v6, s7, v0
	s_cbranch_execz .LBB53_20
	s_branch .LBB53_21
.LBB53_19:
                                        ; implicit-def: $vgpr6
.LBB53_20:
	v_add_nc_u32_e32 v6, 1, v2
.LBB53_21:
	v_cndmask_b32_e64 v19, 0, 1, s1
	v_dual_mov_b32 v16, 0 :: v_dual_mov_b32 v15, 0
	s_and_not1_b32 vcc_lo, exec_lo, s1
	s_cbranch_vccnz .LBB53_23
; %bb.22:
	v_dual_mov_b32 v21, 0 :: v_dual_add_nc_u32 v20, s26, v5
	s_delay_alu instid0(VALU_DEP_1) | instskip(NEXT) | instid1(VALU_DEP_1)
	v_lshlrev_b64 v[20:21], 1, v[20:21]
	v_add_co_u32 v20, vcc_lo, s14, v20
	s_delay_alu instid0(VALU_DEP_2)
	v_add_co_ci_u32_e32 v21, vcc_lo, s15, v21, vcc_lo
	global_load_u16 v5, v[20:21], off
	s_waitcnt vmcnt(0)
	v_lshlrev_b32_e32 v15, 16, v5
.LBB53_23:
	v_cndmask_b32_e64 v20, 0, 1, s9
	s_and_not1_b32 vcc_lo, exec_lo, s9
	s_cbranch_vccnz .LBB53_25
; %bb.24:
	v_dual_mov_b32 v6, 0 :: v_dual_add_nc_u32 v5, s26, v6
	s_delay_alu instid0(VALU_DEP_1) | instskip(NEXT) | instid1(VALU_DEP_1)
	v_lshlrev_b64 v[5:6], 1, v[5:6]
	v_add_co_u32 v5, vcc_lo, s2, v5
	s_delay_alu instid0(VALU_DEP_2)
	v_add_co_ci_u32_e32 v6, vcc_lo, s3, v6, vcc_lo
	global_load_u16 v5, v[5:6], off
	s_waitcnt vmcnt(0)
	v_lshlrev_b32_e32 v16, 16, v5
.LBB53_25:
	v_cmp_ne_u32_e32 vcc_lo, 1, v3
	v_add_nc_u32_e32 v17, 2, v4
	s_cbranch_vccnz .LBB53_27
; %bb.26:
	s_delay_alu instid0(VALU_DEP_1)
	v_mad_u64_u32 v[5:6], null, v17, s6, v[0:1]
	s_cbranch_execz .LBB53_28
	s_branch .LBB53_29
.LBB53_27:
                                        ; implicit-def: $vgpr5
.LBB53_28:
	v_add_nc_u32_e32 v5, 2, v1
.LBB53_29:
	v_cmp_ne_u32_e32 vcc_lo, 1, v18
	s_cbranch_vccnz .LBB53_31
; %bb.30:
	v_mad_u64_u32 v[6:7], null, v17, s7, v[0:1]
	s_cbranch_execz .LBB53_32
	s_branch .LBB53_33
.LBB53_31:
                                        ; implicit-def: $vgpr6
.LBB53_32:
	v_add_nc_u32_e32 v6, 2, v2
.LBB53_33:
	v_cmp_ne_u32_e32 vcc_lo, 1, v19
	v_mov_b32_e32 v17, 0
	v_mov_b32_e32 v7, 0
	s_cbranch_vccnz .LBB53_35
; %bb.34:
	v_dual_mov_b32 v22, 0 :: v_dual_add_nc_u32 v21, s26, v5
	s_delay_alu instid0(VALU_DEP_1) | instskip(NEXT) | instid1(VALU_DEP_1)
	v_lshlrev_b64 v[21:22], 1, v[21:22]
	v_add_co_u32 v21, vcc_lo, s14, v21
	s_delay_alu instid0(VALU_DEP_2)
	v_add_co_ci_u32_e32 v22, vcc_lo, s15, v22, vcc_lo
	global_load_u16 v5, v[21:22], off
	s_waitcnt vmcnt(0)
	v_lshlrev_b32_e32 v7, 16, v5
.LBB53_35:
	v_cmp_ne_u32_e32 vcc_lo, 1, v20
	s_cbranch_vccnz .LBB53_37
; %bb.36:
	v_dual_mov_b32 v6, 0 :: v_dual_add_nc_u32 v5, s26, v6
	s_delay_alu instid0(VALU_DEP_1) | instskip(NEXT) | instid1(VALU_DEP_1)
	v_lshlrev_b64 v[5:6], 1, v[5:6]
	v_add_co_u32 v5, vcc_lo, s2, v5
	s_delay_alu instid0(VALU_DEP_2)
	v_add_co_ci_u32_e32 v6, vcc_lo, s3, v6, vcc_lo
	global_load_u16 v5, v[5:6], off
	s_waitcnt vmcnt(0)
	v_lshlrev_b32_e32 v17, 16, v5
.LBB53_37:
	v_cmp_ne_u32_e32 vcc_lo, 1, v3
	v_add_nc_u32_e32 v6, 3, v4
	s_cbranch_vccnz .LBB53_39
; %bb.38:
	s_delay_alu instid0(VALU_DEP_1)
	v_mad_u64_u32 v[3:4], null, v6, s6, v[0:1]
	s_cbranch_execz .LBB53_40
	s_branch .LBB53_41
.LBB53_39:
                                        ; implicit-def: $vgpr3
.LBB53_40:
	v_add_nc_u32_e32 v3, 3, v1
.LBB53_41:
	v_cmp_ne_u32_e32 vcc_lo, 1, v18
	s_cbranch_vccnz .LBB53_43
; %bb.42:
	v_mad_u64_u32 v[4:5], null, v6, s7, v[0:1]
	s_cbranch_execz .LBB53_44
	s_branch .LBB53_45
.LBB53_43:
                                        ; implicit-def: $vgpr4
.LBB53_44:
	v_add_nc_u32_e32 v4, 3, v2
.LBB53_45:
	v_cmp_ne_u32_e32 vcc_lo, 1, v19
	v_dual_mov_b32 v6, 0 :: v_dual_mov_b32 v5, 0
	s_cbranch_vccnz .LBB53_47
; %bb.46:
	v_dual_mov_b32 v2, 0 :: v_dual_add_nc_u32 v1, s26, v3
	s_delay_alu instid0(VALU_DEP_1) | instskip(NEXT) | instid1(VALU_DEP_1)
	v_lshlrev_b64 v[1:2], 1, v[1:2]
	v_add_co_u32 v1, vcc_lo, s14, v1
	s_delay_alu instid0(VALU_DEP_2)
	v_add_co_ci_u32_e32 v2, vcc_lo, s15, v2, vcc_lo
	global_load_u16 v1, v[1:2], off
	s_waitcnt vmcnt(0)
	v_lshlrev_b32_e32 v5, 16, v1
.LBB53_47:
	v_cmp_ne_u32_e32 vcc_lo, 1, v20
	s_cbranch_vccnz .LBB53_49
; %bb.48:
	v_dual_mov_b32 v2, 0 :: v_dual_add_nc_u32 v1, s26, v4
	s_delay_alu instid0(VALU_DEP_1) | instskip(NEXT) | instid1(VALU_DEP_1)
	v_lshlrev_b64 v[1:2], 1, v[1:2]
	v_add_co_u32 v1, vcc_lo, s2, v1
	s_delay_alu instid0(VALU_DEP_2)
	v_add_co_ci_u32_e32 v2, vcc_lo, s3, v2, vcc_lo
	global_load_u16 v1, v[1:2], off
	s_waitcnt vmcnt(0)
	v_lshlrev_b32_e32 v6, 16, v1
.LBB53_49:
	v_mul_f32_e32 v2, s16, v14
	s_delay_alu instid0(VALU_DEP_1) | instskip(NEXT) | instid1(VALU_DEP_1)
	v_fmac_f32_e32 v2, s11, v13
	v_and_b32_e32 v1, 0x7f800000, v2
	s_delay_alu instid0(VALU_DEP_1) | instskip(SKIP_1) | instid1(SALU_CYCLE_1)
	v_cmp_ne_u32_e32 vcc_lo, 0x7f800000, v1
                                        ; implicit-def: $vgpr1
	s_and_saveexec_b32 s0, vcc_lo
	s_xor_b32 s0, exec_lo, s0
; %bb.50:
	v_bfe_u32 v1, v2, 16, 1
	s_delay_alu instid0(VALU_DEP_1)
	v_add3_u32 v1, v2, v1, 0x7fff
                                        ; implicit-def: $vgpr2
; %bb.51:
	s_and_not1_saveexec_b32 s0, s0
; %bb.52:
	v_and_b32_e32 v1, 0xffff, v2
	v_or_b32_e32 v3, 0x10000, v2
	s_delay_alu instid0(VALU_DEP_2) | instskip(NEXT) | instid1(VALU_DEP_2)
	v_cmp_eq_u32_e32 vcc_lo, 0, v1
	v_cndmask_b32_e32 v1, v3, v2, vcc_lo
; %bb.53:
	s_or_b32 exec_lo, exec_lo, s0
	s_load_b64 s[0:1], s[22:23], 0x4
	v_mul_f32_e32 v14, s16, v16
	v_bfe_u32 v4, v41, 10, 10
	v_bfe_u32 v3, v41, 20, 10
	v_lshrrev_b32_e32 v1, 16, v1
	s_delay_alu instid0(VALU_DEP_4) | instskip(NEXT) | instid1(VALU_DEP_1)
	v_fmac_f32_e32 v14, s11, v15
	v_and_b32_e32 v15, 0x7f800000, v14
	s_delay_alu instid0(VALU_DEP_1) | instskip(SKIP_2) | instid1(SALU_CYCLE_1)
	v_cmp_ne_u32_e32 vcc_lo, 0x7f800000, v15
                                        ; implicit-def: $vgpr15
	s_waitcnt lgkmcnt(0)
	s_lshr_b32 s0, s0, 16
	s_mul_i32 s0, s0, s1
	s_delay_alu instid0(SALU_CYCLE_1) | instskip(NEXT) | instid1(VALU_DEP_1)
	v_mul_lo_u32 v2, s0, v8
	v_mad_u32_u24 v13, v4, s1, v2
	s_delay_alu instid0(VALU_DEP_1) | instskip(SKIP_2) | instid1(SALU_CYCLE_1)
	v_add_lshl_u32 v13, v13, v3, 3
	ds_store_b16 v13, v1
	s_and_saveexec_b32 s0, vcc_lo
	s_xor_b32 s0, exec_lo, s0
; %bb.54:
	v_bfe_u32 v15, v14, 16, 1
	s_delay_alu instid0(VALU_DEP_1)
	v_add3_u32 v15, v14, v15, 0x7fff
                                        ; implicit-def: $vgpr14
; %bb.55:
	s_and_not1_saveexec_b32 s0, s0
; %bb.56:
	v_and_b32_e32 v15, 0xffff, v14
	v_or_b32_e32 v16, 0x10000, v14
	s_delay_alu instid0(VALU_DEP_2) | instskip(NEXT) | instid1(VALU_DEP_2)
	v_cmp_eq_u32_e32 vcc_lo, 0, v15
	v_cndmask_b32_e32 v15, v16, v14, vcc_lo
; %bb.57:
	s_or_b32 exec_lo, exec_lo, s0
	v_mul_f32_e32 v14, s16, v17
	s_mov_b32 s0, exec_lo
	s_delay_alu instid0(VALU_DEP_1) | instskip(SKIP_1) | instid1(VALU_DEP_2)
	v_fmac_f32_e32 v14, s11, v7
	v_lshrrev_b32_e32 v7, 16, v15
                                        ; implicit-def: $vgpr15
	v_and_b32_e32 v16, 0x7f800000, v14
	ds_store_b16 v13, v7 offset:2
	v_cmpx_ne_u32_e32 0x7f800000, v16
	s_xor_b32 s0, exec_lo, s0
; %bb.58:
	v_bfe_u32 v15, v14, 16, 1
	s_delay_alu instid0(VALU_DEP_1)
	v_add3_u32 v15, v14, v15, 0x7fff
                                        ; implicit-def: $vgpr14
; %bb.59:
	s_and_not1_saveexec_b32 s0, s0
; %bb.60:
	v_and_b32_e32 v15, 0xffff, v14
	v_or_b32_e32 v16, 0x10000, v14
	s_delay_alu instid0(VALU_DEP_2) | instskip(NEXT) | instid1(VALU_DEP_2)
	v_cmp_eq_u32_e32 vcc_lo, 0, v15
	v_cndmask_b32_e32 v15, v16, v14, vcc_lo
; %bb.61:
	s_or_b32 exec_lo, exec_lo, s0
	v_mul_f32_e32 v6, s16, v6
	s_delay_alu instid0(VALU_DEP_1) | instskip(NEXT) | instid1(VALU_DEP_3)
	v_fmac_f32_e32 v6, s11, v5
	v_lshrrev_b32_e32 v5, 16, v15
	s_delay_alu instid0(VALU_DEP_2) | instskip(SKIP_3) | instid1(SALU_CYCLE_1)
	v_and_b32_e32 v14, 0x7f800000, v6
	ds_store_b16 v13, v5 offset:4
	v_cmp_ne_u32_e32 vcc_lo, 0x7f800000, v14
                                        ; implicit-def: $vgpr14
	s_and_saveexec_b32 s0, vcc_lo
	s_xor_b32 s0, exec_lo, s0
; %bb.62:
	v_bfe_u32 v14, v6, 16, 1
	s_delay_alu instid0(VALU_DEP_1)
	v_add3_u32 v14, v6, v14, 0x7fff
                                        ; implicit-def: $vgpr6
; %bb.63:
	s_and_not1_saveexec_b32 s0, s0
; %bb.64:
	v_and_b32_e32 v14, 0xffff, v6
	v_or_b32_e32 v15, 0x10000, v6
	s_delay_alu instid0(VALU_DEP_2) | instskip(NEXT) | instid1(VALU_DEP_2)
	v_cmp_eq_u32_e32 vcc_lo, 0, v14
	v_cndmask_b32_e32 v14, v15, v6, vcc_lo
; %bb.65:
	s_or_b32 exec_lo, exec_lo, s0
	v_mul_lo_u32 v6, v0, s8
	s_delay_alu instid0(VALU_DEP_2)
	v_lshrrev_b32_e32 v0, 16, v14
	s_mov_b32 s0, exec_lo
	ds_store_b16 v13, v0 offset:6
	v_cmpx_ge_u32_e64 s4, v12
	s_xor_b32 s0, exec_lo, s0
	s_cbranch_execz .LBB53_67
; %bb.66:
	v_dual_mov_b32 v3, 0 :: v_dual_add_nc_u32 v2, s26, v11
                                        ; implicit-def: $vgpr4
	s_delay_alu instid0(VALU_DEP_1) | instskip(NEXT) | instid1(VALU_DEP_1)
	v_sub_nc_u32_e32 v2, v2, v10
	v_dual_mov_b32 v9, v3 :: v_dual_add_nc_u32 v2, v2, v6
	v_mov_b32_e32 v11, v3
                                        ; implicit-def: $vgpr6
	s_delay_alu instid0(VALU_DEP_2) | instskip(SKIP_3) | instid1(VALU_DEP_4)
	v_add_nc_u32_e32 v8, 1, v2
	v_lshlrev_b64 v[12:13], 1, v[2:3]
	v_add_nc_u32_e32 v10, 2, v2
	v_add_nc_u32_e32 v2, 3, v2
	v_lshlrev_b64 v[8:9], 1, v[8:9]
	s_delay_alu instid0(VALU_DEP_3)
	v_lshlrev_b64 v[10:11], 1, v[10:11]
	v_add_co_u32 v12, vcc_lo, s12, v12
	v_add_co_ci_u32_e32 v13, vcc_lo, s13, v13, vcc_lo
	v_lshlrev_b64 v[2:3], 1, v[2:3]
	v_add_co_u32 v8, vcc_lo, s12, v8
	v_add_co_ci_u32_e32 v9, vcc_lo, s13, v9, vcc_lo
	v_add_co_u32 v10, vcc_lo, s12, v10
	v_add_co_ci_u32_e32 v11, vcc_lo, s13, v11, vcc_lo
	;; [unrolled: 2-line block ×3, first 2 shown]
	s_clause 0x3
	global_store_b16 v[12:13], v1, off
	global_store_b16 v[8:9], v7, off
	;; [unrolled: 1-line block ×4, first 2 shown]
                                        ; implicit-def: $vgpr10
                                        ; implicit-def: $vgpr9
                                        ; implicit-def: $vgpr3
                                        ; implicit-def: $vgpr2
                                        ; implicit-def: $vgpr8
.LBB53_67:
	s_and_not1_saveexec_b32 s0, s0
	s_cbranch_execz .LBB53_71
; %bb.68:
	v_cmp_gt_u32_e32 vcc_lo, 4, v10
	s_and_b32 exec_lo, exec_lo, vcc_lo
	s_cbranch_execz .LBB53_71
; %bb.69:
	v_mul_u32_u24_e32 v0, s1, v4
	v_lshl_or_b32 v1, s21, 6, v9
	s_lshl_b32 s0, s5, 6
	v_and_b32_e32 v4, 15, v8
	s_lshl_b32 s1, s5, 7
	v_add3_u32 v0, v0, v3, v2
	v_subrev_nc_u32_e32 v2, s0, v1
	v_add3_u32 v1, s26, v6, v1
	s_delay_alu instid0(VALU_DEP_3) | instskip(NEXT) | instid1(VALU_DEP_3)
	v_add_lshl_u32 v0, v0, v4, 3
	v_add_nc_u32_e32 v3, 4, v2
	s_delay_alu instid0(VALU_DEP_2) | instskip(NEXT) | instid1(VALU_DEP_2)
	v_lshl_add_u32 v0, s21, 7, v0
	v_min_u32_e32 v3, s4, v3
	s_delay_alu instid0(VALU_DEP_2) | instskip(NEXT) | instid1(VALU_DEP_2)
	v_subrev_nc_u32_e32 v0, s1, v0
	v_lshlrev_b32_e32 v4, 1, v3
	v_sub_nc_u32_e32 v2, v2, v3
	s_mov_b32 s1, 0
	s_delay_alu instid0(VALU_DEP_2) | instskip(SKIP_1) | instid1(VALU_DEP_3)
	v_sub_nc_u32_e32 v3, v0, v4
	v_subrev_nc_u32_e32 v0, s0, v1
	v_dual_mov_b32 v1, 0 :: v_dual_add_nc_u32 v2, 3, v2
	s_delay_alu instid0(VALU_DEP_3)
	v_add_nc_u32_e32 v3, 8, v3
	.p2align	6
.LBB53_70:                              ; =>This Inner Loop Header: Depth=1
	ds_load_u16 v6, v3
	v_lshlrev_b64 v[4:5], 1, v[0:1]
	v_add_nc_u32_e32 v2, 1, v2
	v_add_nc_u32_e32 v0, 1, v0
	;; [unrolled: 1-line block ×3, first 2 shown]
	s_delay_alu instid0(VALU_DEP_3) | instskip(SKIP_1) | instid1(VALU_DEP_1)
	v_cmp_lt_u32_e32 vcc_lo, 2, v2
	v_add_co_u32 v4, s0, s12, v4
	v_add_co_ci_u32_e64 v5, s0, s13, v5, s0
	s_or_b32 s1, vcc_lo, s1
	s_waitcnt lgkmcnt(0)
	global_store_b16 v[4:5], v6, off
	s_and_not1_b32 exec_lo, exec_lo, s1
	s_cbranch_execnz .LBB53_70
.LBB53_71:
	s_endpgm
	.section	.rodata,"a",@progbits
	.p2align	6, 0x0
	.amdhsa_kernel Transform_BF16_S_110_16_16_VW_4
		.amdhsa_group_segment_fixed_size 8192
		.amdhsa_private_segment_fixed_size 64
		.amdhsa_kernarg_size 344
		.amdhsa_user_sgpr_count 14
		.amdhsa_user_sgpr_dispatch_ptr 1
		.amdhsa_user_sgpr_queue_ptr 0
		.amdhsa_user_sgpr_kernarg_segment_ptr 1
		.amdhsa_user_sgpr_dispatch_id 0
		.amdhsa_user_sgpr_private_segment_size 0
		.amdhsa_wavefront_size32 1
		.amdhsa_uses_dynamic_stack 0
		.amdhsa_enable_private_segment 1
		.amdhsa_system_sgpr_workgroup_id_x 1
		.amdhsa_system_sgpr_workgroup_id_y 0
		.amdhsa_system_sgpr_workgroup_id_z 1
		.amdhsa_system_sgpr_workgroup_info 0
		.amdhsa_system_vgpr_workitem_id 2
		.amdhsa_next_free_vgpr 42
		.amdhsa_next_free_sgpr 34
		.amdhsa_reserve_vcc 1
		.amdhsa_float_round_mode_32 0
		.amdhsa_float_round_mode_16_64 0
		.amdhsa_float_denorm_mode_32 3
		.amdhsa_float_denorm_mode_16_64 3
		.amdhsa_dx10_clamp 1
		.amdhsa_ieee_mode 1
		.amdhsa_fp16_overflow 0
		.amdhsa_workgroup_processor_mode 1
		.amdhsa_memory_ordered 1
		.amdhsa_forward_progress 0
		.amdhsa_shared_vgpr_count 0
		.amdhsa_exception_fp_ieee_invalid_op 0
		.amdhsa_exception_fp_denorm_src 0
		.amdhsa_exception_fp_ieee_div_zero 0
		.amdhsa_exception_fp_ieee_overflow 0
		.amdhsa_exception_fp_ieee_underflow 0
		.amdhsa_exception_fp_ieee_inexact 0
		.amdhsa_exception_int_div_zero 0
	.end_amdhsa_kernel
	.text
.Lfunc_end53:
	.size	Transform_BF16_S_110_16_16_VW_4, .Lfunc_end53-Transform_BF16_S_110_16_16_VW_4
                                        ; -- End function
	.section	.AMDGPU.csdata,"",@progbits
; Kernel info:
; codeLenInByte = 2300
; NumSgprs: 36
; NumVgprs: 42
; ScratchSize: 64
; MemoryBound: 0
; FloatMode: 240
; IeeeMode: 1
; LDSByteSize: 8192 bytes/workgroup (compile time only)
; SGPRBlocks: 4
; VGPRBlocks: 5
; NumSGPRsForWavesPerEU: 36
; NumVGPRsForWavesPerEU: 42
; Occupancy: 16
; WaveLimiterHint : 1
; COMPUTE_PGM_RSRC2:SCRATCH_EN: 1
; COMPUTE_PGM_RSRC2:USER_SGPR: 14
; COMPUTE_PGM_RSRC2:TRAP_HANDLER: 0
; COMPUTE_PGM_RSRC2:TGID_X_EN: 1
; COMPUTE_PGM_RSRC2:TGID_Y_EN: 0
; COMPUTE_PGM_RSRC2:TGID_Z_EN: 1
; COMPUTE_PGM_RSRC2:TIDIG_COMP_CNT: 2
	.text
	.protected	Transform_BF16_S_101_16_16_VW_1 ; -- Begin function Transform_BF16_S_101_16_16_VW_1
	.globl	Transform_BF16_S_101_16_16_VW_1
	.p2align	8
	.type	Transform_BF16_S_101_16_16_VW_1,@function
Transform_BF16_S_101_16_16_VW_1:        ; @Transform_BF16_S_101_16_16_VW_1
; %bb.0:
	s_mov_b64 s[22:23], s[0:1]
	s_load_b32 s0, s[0:1], 0x64
	v_mov_b32_e32 v41, v0
	s_mov_b32 s21, s15
	s_mov_b32 s24, s14
	;; [unrolled: 1-line block ×3, first 2 shown]
	s_waitcnt lgkmcnt(0)
	v_cmp_eq_u16_e64 s0, 0x100, s0
	s_delay_alu instid0(VALU_DEP_1)
	s_and_b32 vcc_lo, exec_lo, s0
	s_mov_b32 s0, -1
	s_cbranch_vccnz .LBB54_2
; %bb.1:
	s_add_u32 s8, s22, 0x58
	s_addc_u32 s9, s23, 0
	s_getpc_b64 s[0:1]
	s_add_u32 s0, s0, __PRETTY_FUNCTION__._ZN10amd_detail9transformI12hip_bfloat16fLb1ELb0ELb1ELj16ELj16ELj1EEEvPT_PKS2_S5_T0_PKS6_S6_S8_jjjjjjbb@rel32@lo+4
	s_addc_u32 s1, s1, __PRETTY_FUNCTION__._ZN10amd_detail9transformI12hip_bfloat16fLb1ELb0ELb1ELj16ELj16ELj1EEEvPT_PKS2_S5_T0_PKS6_S6_S8_jjjjjjbb@rel32@hi+12
	s_delay_alu instid0(SALU_CYCLE_1) | instskip(SKIP_3) | instid1(SALU_CYCLE_1)
	v_dual_mov_b32 v0, s0 :: v_dual_mov_b32 v1, s1
	s_getpc_b64 s[2:3]
	s_add_u32 s2, s2, __assert_fail@rel32@lo+4
	s_addc_u32 s3, s3, __assert_fail@rel32@hi+12
	s_swappc_b64 s[30:31], s[2:3]
	; divergent unreachable
	s_mov_b32 s0, 0
.LBB54_2:
	s_delay_alu instid0(SALU_CYCLE_1)
	s_and_not1_b32 vcc_lo, exec_lo, s0
	s_cbranch_vccnz .LBB54_18
; %bb.3:
	s_load_b256 s[0:7], s[22:23], 0x38
	s_waitcnt lgkmcnt(0)
	s_and_b32 s7, s0, 15
	s_lshr_b32 s8, s0, 4
	s_cmp_lg_u32 s7, 0
	s_cselect_b32 s7, -1, 0
	s_delay_alu instid0(SALU_CYCLE_1) | instskip(SKIP_4) | instid1(VALU_DEP_1)
	s_cmp_lg_u32 s7, 0
	s_addc_u32 s10, s8, 0
	s_load_b64 s[8:9], s[22:23], 0x20
	v_cvt_f32_u32_e32 v0, s10
	s_sub_i32 s11, 0, s10
	v_rcp_iflag_f32_e32 v0, v0
	s_waitcnt_depctr 0xfff
	v_mul_f32_e32 v0, 0x4f7ffffe, v0
	s_delay_alu instid0(VALU_DEP_1) | instskip(NEXT) | instid1(VALU_DEP_1)
	v_cvt_u32_f32_e32 v0, v0
	v_readfirstlane_b32 s7, v0
	s_delay_alu instid0(VALU_DEP_1) | instskip(NEXT) | instid1(SALU_CYCLE_1)
	s_mul_i32 s11, s11, s7
	s_mul_hi_u32 s11, s7, s11
	s_delay_alu instid0(SALU_CYCLE_1)
	s_add_i32 s7, s7, s11
	s_waitcnt lgkmcnt(0)
	s_cmp_eq_u64 s[8:9], 0
	s_mul_hi_u32 s11, s24, s7
	s_cbranch_scc1 .LBB54_6
; %bb.4:
	s_load_b32 s7, s[8:9], 0x0
	s_load_b64 s[8:9], s[22:23], 0x30
	s_waitcnt lgkmcnt(0)
	s_cmp_eq_u64 s[8:9], 0
	s_cbranch_scc1 .LBB54_7
.LBB54_5:
	s_load_b32 s12, s[8:9], 0x0
	s_branch .LBB54_8
.LBB54_6:
	s_clause 0x1
	s_load_b32 s7, s[22:23], 0x18
	s_load_b64 s[8:9], s[22:23], 0x30
	s_waitcnt lgkmcnt(0)
	s_cmp_eq_u64 s[8:9], 0
	s_cbranch_scc0 .LBB54_5
.LBB54_7:
	s_load_b32 s12, s[22:23], 0x28
.LBB54_8:
	s_mul_i32 s8, s11, s10
	s_add_i32 s9, s11, 1
	s_sub_i32 s8, s24, s8
	v_and_b32_e32 v0, 15, v41
	s_sub_i32 s13, s8, s10
	s_cmp_ge_u32 s8, s10
	v_lshrrev_b32_e32 v2, 4, v41
	s_cselect_b32 s9, s9, s11
	s_cselect_b32 s8, s13, s8
	s_add_i32 s11, s9, 1
	s_cmp_ge_u32 s8, s10
	s_cselect_b32 s8, s11, s9
	s_delay_alu instid0(SALU_CYCLE_1) | instskip(NEXT) | instid1(SALU_CYCLE_1)
	s_mul_i32 s9, s8, s10
	s_sub_i32 s9, s24, s9
	s_delay_alu instid0(SALU_CYCLE_1) | instskip(SKIP_1) | instid1(VALU_DEP_2)
	v_lshl_or_b32 v1, s9, 4, v0
	v_lshl_add_u32 v0, s8, 4, v2
	v_cmp_gt_u32_e32 vcc_lo, s0, v1
	s_delay_alu instid0(VALU_DEP_2) | instskip(NEXT) | instid1(VALU_DEP_1)
	v_cmp_gt_u32_e64 s0, s1, v0
	s_and_b32 s0, vcc_lo, s0
	s_delay_alu instid0(SALU_CYCLE_1)
	s_and_saveexec_b32 s1, s0
	s_cbranch_execz .LBB54_18
; %bb.9:
	s_clause 0x1
	s_load_b128 s[8:11], s[22:23], 0x0
	s_load_b64 s[0:1], s[22:23], 0x10
	v_dual_mov_b32 v3, 0 :: v_dual_mov_b32 v2, 0
	s_mul_i32 s21, s21, s5
	s_waitcnt lgkmcnt(0)
	s_cmp_eq_u64 s[10:11], 0
	s_cbranch_scc1 .LBB54_11
; %bb.10:
	s_bitcmp1_b32 s6, 0
	v_mov_b32_e32 v5, 0
	s_cselect_b32 vcc_lo, -1, 0
	v_cndmask_b32_e32 v2, v1, v0, vcc_lo
	v_cndmask_b32_e32 v4, v0, v1, vcc_lo
	s_delay_alu instid0(VALU_DEP_2) | instskip(NEXT) | instid1(VALU_DEP_1)
	v_mul_lo_u32 v2, v2, s2
	v_add3_u32 v4, v4, s21, v2
	s_delay_alu instid0(VALU_DEP_1) | instskip(NEXT) | instid1(VALU_DEP_1)
	v_lshlrev_b64 v[4:5], 1, v[4:5]
	v_add_co_u32 v4, vcc_lo, s10, v4
	s_delay_alu instid0(VALU_DEP_2)
	v_add_co_ci_u32_e32 v5, vcc_lo, s11, v5, vcc_lo
	global_load_u16 v2, v[4:5], off
	s_waitcnt vmcnt(0)
	v_lshlrev_b32_e32 v2, 16, v2
.LBB54_11:
	s_cmp_eq_u64 s[0:1], 0
	s_cbranch_scc1 .LBB54_13
; %bb.12:
	s_load_b32 s2, s[22:23], 0x50
	v_mov_b32_e32 v4, 0
	s_waitcnt lgkmcnt(0)
	s_bitcmp1_b32 s2, 8
	s_cselect_b32 vcc_lo, -1, 0
	v_cndmask_b32_e32 v3, v0, v1, vcc_lo
	v_cndmask_b32_e32 v5, v1, v0, vcc_lo
	s_delay_alu instid0(VALU_DEP_2) | instskip(NEXT) | instid1(VALU_DEP_1)
	v_mul_lo_u32 v3, v3, s3
	v_add3_u32 v3, v5, s21, v3
	s_delay_alu instid0(VALU_DEP_1) | instskip(NEXT) | instid1(VALU_DEP_1)
	v_lshlrev_b64 v[3:4], 1, v[3:4]
	v_add_co_u32 v3, vcc_lo, s0, v3
	s_delay_alu instid0(VALU_DEP_2)
	v_add_co_ci_u32_e32 v4, vcc_lo, s1, v4, vcc_lo
	global_load_u16 v3, v[3:4], off
	s_waitcnt vmcnt(0)
	v_lshlrev_b32_e32 v3, 16, v3
.LBB54_13:
	s_delay_alu instid0(VALU_DEP_1) | instskip(NEXT) | instid1(VALU_DEP_1)
	v_mul_f32_e32 v3, s12, v3
	v_fmac_f32_e32 v3, s7, v2
	s_delay_alu instid0(VALU_DEP_1) | instskip(NEXT) | instid1(VALU_DEP_1)
	v_and_b32_e32 v2, 0x7f800000, v3
	v_cmp_ne_u32_e32 vcc_lo, 0x7f800000, v2
                                        ; implicit-def: $vgpr2
	s_and_saveexec_b32 s0, vcc_lo
	s_delay_alu instid0(SALU_CYCLE_1)
	s_xor_b32 s0, exec_lo, s0
; %bb.14:
	v_bfe_u32 v2, v3, 16, 1
	s_delay_alu instid0(VALU_DEP_1)
	v_add3_u32 v2, v3, v2, 0x7fff
                                        ; implicit-def: $vgpr3
; %bb.15:
	s_and_not1_saveexec_b32 s0, s0
; %bb.16:
	v_and_b32_e32 v2, 0xffff, v3
	v_or_b32_e32 v4, 0x10000, v3
	s_delay_alu instid0(VALU_DEP_2) | instskip(NEXT) | instid1(VALU_DEP_2)
	v_cmp_eq_u32_e32 vcc_lo, 0, v2
	v_cndmask_b32_e32 v2, v4, v3, vcc_lo
; %bb.17:
	s_or_b32 exec_lo, exec_lo, s0
	v_mul_lo_u32 v3, v1, s4
	v_mov_b32_e32 v1, 0
	s_delay_alu instid0(VALU_DEP_2) | instskip(NEXT) | instid1(VALU_DEP_1)
	v_add3_u32 v0, v0, s21, v3
	v_lshlrev_b64 v[0:1], 1, v[0:1]
	s_delay_alu instid0(VALU_DEP_1) | instskip(NEXT) | instid1(VALU_DEP_2)
	v_add_co_u32 v0, vcc_lo, s8, v0
	v_add_co_ci_u32_e32 v1, vcc_lo, s9, v1, vcc_lo
	global_store_d16_hi_b16 v[0:1], v2, off
.LBB54_18:
	s_endpgm
	.section	.rodata,"a",@progbits
	.p2align	6, 0x0
	.amdhsa_kernel Transform_BF16_S_101_16_16_VW_1
		.amdhsa_group_segment_fixed_size 0
		.amdhsa_private_segment_fixed_size 64
		.amdhsa_kernarg_size 344
		.amdhsa_user_sgpr_count 14
		.amdhsa_user_sgpr_dispatch_ptr 0
		.amdhsa_user_sgpr_queue_ptr 0
		.amdhsa_user_sgpr_kernarg_segment_ptr 1
		.amdhsa_user_sgpr_dispatch_id 0
		.amdhsa_user_sgpr_private_segment_size 0
		.amdhsa_wavefront_size32 1
		.amdhsa_uses_dynamic_stack 0
		.amdhsa_enable_private_segment 1
		.amdhsa_system_sgpr_workgroup_id_x 1
		.amdhsa_system_sgpr_workgroup_id_y 0
		.amdhsa_system_sgpr_workgroup_id_z 1
		.amdhsa_system_sgpr_workgroup_info 0
		.amdhsa_system_vgpr_workitem_id 0
		.amdhsa_next_free_vgpr 42
		.amdhsa_next_free_sgpr 34
		.amdhsa_reserve_vcc 1
		.amdhsa_float_round_mode_32 0
		.amdhsa_float_round_mode_16_64 0
		.amdhsa_float_denorm_mode_32 3
		.amdhsa_float_denorm_mode_16_64 3
		.amdhsa_dx10_clamp 1
		.amdhsa_ieee_mode 1
		.amdhsa_fp16_overflow 0
		.amdhsa_workgroup_processor_mode 1
		.amdhsa_memory_ordered 1
		.amdhsa_forward_progress 0
		.amdhsa_shared_vgpr_count 0
		.amdhsa_exception_fp_ieee_invalid_op 0
		.amdhsa_exception_fp_denorm_src 0
		.amdhsa_exception_fp_ieee_div_zero 0
		.amdhsa_exception_fp_ieee_overflow 0
		.amdhsa_exception_fp_ieee_underflow 0
		.amdhsa_exception_fp_ieee_inexact 0
		.amdhsa_exception_int_div_zero 0
	.end_amdhsa_kernel
	.text
.Lfunc_end54:
	.size	Transform_BF16_S_101_16_16_VW_1, .Lfunc_end54-Transform_BF16_S_101_16_16_VW_1
                                        ; -- End function
	.section	.AMDGPU.csdata,"",@progbits
; Kernel info:
; codeLenInByte = 852
; NumSgprs: 36
; NumVgprs: 42
; ScratchSize: 64
; MemoryBound: 0
; FloatMode: 240
; IeeeMode: 1
; LDSByteSize: 0 bytes/workgroup (compile time only)
; SGPRBlocks: 4
; VGPRBlocks: 5
; NumSGPRsForWavesPerEU: 36
; NumVGPRsForWavesPerEU: 42
; Occupancy: 16
; WaveLimiterHint : 1
; COMPUTE_PGM_RSRC2:SCRATCH_EN: 1
; COMPUTE_PGM_RSRC2:USER_SGPR: 14
; COMPUTE_PGM_RSRC2:TRAP_HANDLER: 0
; COMPUTE_PGM_RSRC2:TGID_X_EN: 1
; COMPUTE_PGM_RSRC2:TGID_Y_EN: 0
; COMPUTE_PGM_RSRC2:TGID_Z_EN: 1
; COMPUTE_PGM_RSRC2:TIDIG_COMP_CNT: 0
	.text
	.protected	Transform_BF16_S_101_16_16_VW_4 ; -- Begin function Transform_BF16_S_101_16_16_VW_4
	.globl	Transform_BF16_S_101_16_16_VW_4
	.p2align	8
	.type	Transform_BF16_S_101_16_16_VW_4,@function
Transform_BF16_S_101_16_16_VW_4:        ; @Transform_BF16_S_101_16_16_VW_4
; %bb.0:
	s_mov_b64 s[22:23], s[0:1]
	s_load_b32 s0, s[2:3], 0x64
	v_mov_b32_e32 v41, v0
	s_mov_b32 s26, s15
	s_mov_b64 s[24:25], s[2:3]
	s_mov_b32 s21, s14
	s_mov_b32 s32, 0
	s_waitcnt lgkmcnt(0)
	v_cmp_eq_u16_e64 s0, 0x100, s0
	s_delay_alu instid0(VALU_DEP_1)
	s_and_b32 vcc_lo, exec_lo, s0
	s_mov_b32 s0, -1
	s_cbranch_vccnz .LBB55_2
; %bb.1:
	s_add_u32 s8, s24, 0x58
	s_addc_u32 s9, s25, 0
	s_getpc_b64 s[0:1]
	s_add_u32 s0, s0, __PRETTY_FUNCTION__._ZN10amd_detail9transformI12hip_bfloat16fLb1ELb0ELb1ELj16ELj16ELj4EEEvPT_PKS2_S5_T0_PKS6_S6_S8_jjjjjjbb@rel32@lo+4
	s_addc_u32 s1, s1, __PRETTY_FUNCTION__._ZN10amd_detail9transformI12hip_bfloat16fLb1ELb0ELb1ELj16ELj16ELj4EEEvPT_PKS2_S5_T0_PKS6_S6_S8_jjjjjjbb@rel32@hi+12
	s_delay_alu instid0(SALU_CYCLE_1) | instskip(SKIP_3) | instid1(SALU_CYCLE_1)
	v_dual_mov_b32 v0, s0 :: v_dual_mov_b32 v1, s1
	s_getpc_b64 s[2:3]
	s_add_u32 s2, s2, __assert_fail@rel32@lo+4
	s_addc_u32 s3, s3, __assert_fail@rel32@hi+12
	s_swappc_b64 s[30:31], s[2:3]
	; divergent unreachable
	s_mov_b32 s0, 0
.LBB55_2:
	s_delay_alu instid0(SALU_CYCLE_1)
	s_and_not1_b32 vcc_lo, exec_lo, s0
	s_cbranch_vccnz .LBB55_71
; %bb.3:
	s_load_b128 s[0:3], s[24:25], 0x38
	s_waitcnt lgkmcnt(0)
	s_and_b32 s4, s0, 15
	s_lshr_b32 s5, s0, 4
	s_cmp_lg_u32 s4, 0
	s_cselect_b32 s4, -1, 0
	s_delay_alu instid0(SALU_CYCLE_1) | instskip(SKIP_4) | instid1(VALU_DEP_1)
	s_cmp_lg_u32 s4, 0
	s_addc_u32 s6, s5, 0
	s_load_b64 s[4:5], s[24:25], 0x20
	v_cvt_f32_u32_e32 v0, s6
	s_sub_i32 s8, 0, s6
	v_rcp_iflag_f32_e32 v0, v0
	s_waitcnt_depctr 0xfff
	v_mul_f32_e32 v0, 0x4f7ffffe, v0
	s_delay_alu instid0(VALU_DEP_1) | instskip(NEXT) | instid1(VALU_DEP_1)
	v_cvt_u32_f32_e32 v0, v0
	v_readfirstlane_b32 s7, v0
	s_delay_alu instid0(VALU_DEP_1) | instskip(NEXT) | instid1(SALU_CYCLE_1)
	s_mul_i32 s8, s8, s7
	s_mul_hi_u32 s8, s7, s8
	s_delay_alu instid0(SALU_CYCLE_1)
	s_add_i32 s7, s7, s8
	s_waitcnt lgkmcnt(0)
	s_cmp_eq_u64 s[4:5], 0
	s_mul_hi_u32 s7, s21, s7
	s_cbranch_scc1 .LBB55_6
; %bb.4:
	s_load_b32 s16, s[4:5], 0x0
	s_load_b64 s[4:5], s[24:25], 0x30
	s_waitcnt lgkmcnt(0)
	s_cmp_eq_u64 s[4:5], 0
	s_cbranch_scc1 .LBB55_7
.LBB55_5:
	s_load_b32 s17, s[4:5], 0x0
	s_branch .LBB55_8
.LBB55_6:
	s_clause 0x1
	s_load_b32 s16, s[24:25], 0x18
	s_load_b64 s[4:5], s[24:25], 0x30
	s_waitcnt lgkmcnt(0)
	s_cmp_eq_u64 s[4:5], 0
	s_cbranch_scc0 .LBB55_5
.LBB55_7:
	s_load_b32 s17, s[24:25], 0x28
.LBB55_8:
	s_mul_i32 s4, s7, s6
	s_add_i32 s5, s7, 1
	s_sub_i32 s4, s21, s4
	v_and_b32_e32 v5, 0x3ff, v41
	s_sub_i32 s8, s4, s6
	s_cmp_ge_u32 s4, s6
	s_cselect_b32 s5, s5, s7
	s_cselect_b32 s4, s8, s4
	s_add_i32 s7, s5, 1
	s_cmp_ge_u32 s4, s6
	v_and_b32_e32 v6, 15, v5
	s_cselect_b32 s14, s7, s5
	s_delay_alu instid0(SALU_CYCLE_1) | instskip(NEXT) | instid1(SALU_CYCLE_1)
	s_mul_i32 s15, s14, s6
	s_sub_i32 s4, s21, s15
	s_delay_alu instid0(VALU_DEP_1) | instid1(SALU_CYCLE_1)
	v_lshl_or_b32 v1, s4, 4, v6
	s_delay_alu instid0(VALU_DEP_1)
	v_cmp_gt_u32_e32 vcc_lo, s0, v1
	s_and_saveexec_b32 s0, vcc_lo
	s_cbranch_execz .LBB55_71
; %bb.9:
	v_lshrrev_b32_e32 v0, 2, v5
	s_clause 0x1
	s_load_b128 s[8:11], s[24:25], 0x48
	s_load_b128 s[4:7], s[24:25], 0x0
	s_waitcnt lgkmcnt(0)
	s_lshl_b32 s11, s14, 6
	s_load_b64 s[12:13], s[24:25], 0x10
	v_dual_mov_b32 v10, 0 :: v_dual_and_b32 v7, 0xfc, v0
	s_delay_alu instid0(VALU_DEP_1) | instskip(NEXT) | instid1(VALU_DEP_1)
	v_dual_mov_b32 v11, 0 :: v_dual_add_nc_u32 v0, s11, v7
	v_add_nc_u32_e32 v8, 4, v0
	v_mad_u64_u32 v[2:3], null, v1, s2, v[0:1]
	s_bitcmp1_b32 s10, 0
	s_delay_alu instid0(VALU_DEP_2) | instskip(SKIP_4) | instid1(VALU_DEP_2)
	v_sub_nc_u32_e64 v9, v8, s1 clamp
	s_cselect_b32 vcc_lo, -1, 0
	s_cmp_lg_u64 s[6:7], 0
	s_mul_i32 s26, s26, s9
	s_cselect_b32 s10, -1, 0
	v_sub_nc_u32_e32 v16, v2, v9
	v_sub_nc_u32_e32 v12, v0, v9
	s_cmp_eq_u64 s[6:7], 0
	s_cbranch_scc1 .LBB55_11
; %bb.10:
	s_delay_alu instid0(VALU_DEP_1) | instskip(NEXT) | instid1(VALU_DEP_1)
	v_mad_u64_u32 v[2:3], null, v12, s2, v[1:2]
	v_dual_mov_b32 v3, 0 :: v_dual_cndmask_b32 v2, v16, v2
	s_delay_alu instid0(VALU_DEP_1) | instskip(NEXT) | instid1(VALU_DEP_1)
	v_add_nc_u32_e32 v2, s26, v2
	v_lshlrev_b64 v[2:3], 1, v[2:3]
	s_delay_alu instid0(VALU_DEP_1) | instskip(NEXT) | instid1(VALU_DEP_1)
	v_add_co_u32 v2, s0, s6, v2
	v_add_co_ci_u32_e64 v3, s0, s7, v3, s0
	global_load_u16 v2, v[2:3], off
	s_waitcnt vmcnt(0)
	v_lshlrev_b32_e32 v11, 16, v2
.LBB55_11:
	s_load_b32 s0, s[24:25], 0x50
	v_mad_u64_u32 v[2:3], null, v1, s3, v[0:1]
	s_xor_b32 s18, vcc_lo, -1
	s_delay_alu instid0(VALU_DEP_1)
	v_sub_nc_u32_e32 v13, v2, v9
	s_waitcnt lgkmcnt(0)
	s_bitcmp1_b32 s0, 8
	s_cselect_b32 s0, -1, 0
	s_cmp_lg_u64 s[12:13], 0
	s_cselect_b32 s9, -1, 0
	s_cmp_eq_u64 s[12:13], 0
	s_cbranch_scc1 .LBB55_13
; %bb.12:
	v_mad_u64_u32 v[2:3], null, v12, s3, v[1:2]
	s_delay_alu instid0(VALU_DEP_1) | instskip(NEXT) | instid1(VALU_DEP_1)
	v_cndmask_b32_e64 v2, v2, v13, s0
	v_dual_mov_b32 v3, 0 :: v_dual_add_nc_u32 v2, s26, v2
	s_delay_alu instid0(VALU_DEP_1) | instskip(NEXT) | instid1(VALU_DEP_1)
	v_lshlrev_b64 v[2:3], 1, v[2:3]
	v_add_co_u32 v2, vcc_lo, s12, v2
	s_delay_alu instid0(VALU_DEP_2)
	v_add_co_ci_u32_e32 v3, vcc_lo, s13, v3, vcc_lo
	global_load_u16 v2, v[2:3], off
	s_waitcnt vmcnt(0)
	v_lshlrev_b32_e32 v10, 16, v2
.LBB55_13:
	v_cndmask_b32_e64 v19, 0, 1, s18
	s_and_not1_b32 vcc_lo, exec_lo, s18
	s_cbranch_vccnz .LBB55_15
; %bb.14:
	v_add_nc_u32_e32 v2, 1, v16
	s_xor_b32 s0, s0, -1
	s_cbranch_execz .LBB55_16
	s_branch .LBB55_17
.LBB55_15:
                                        ; implicit-def: $vgpr2
	s_xor_b32 s0, s0, -1
.LBB55_16:
	v_mul_lo_u32 v2, s2, v12
	s_delay_alu instid0(VALU_DEP_1)
	v_add3_u32 v2, v2, s2, v1
.LBB55_17:
	v_cndmask_b32_e64 v20, 0, 1, s0
	s_and_not1_b32 vcc_lo, exec_lo, s0
	s_cbranch_vccnz .LBB55_19
; %bb.18:
	v_mul_lo_u32 v3, s3, v12
	s_delay_alu instid0(VALU_DEP_1)
	v_add3_u32 v3, v3, s3, v1
	s_cbranch_execz .LBB55_20
	s_branch .LBB55_21
.LBB55_19:
                                        ; implicit-def: $vgpr3
.LBB55_20:
	v_add_nc_u32_e32 v3, 1, v13
.LBB55_21:
	v_cndmask_b32_e64 v21, 0, 1, s10
	v_dual_mov_b32 v15, 0 :: v_dual_mov_b32 v14, 0
	s_and_not1_b32 vcc_lo, exec_lo, s10
	s_cbranch_vccnz .LBB55_23
; %bb.22:
	v_dual_mov_b32 v18, 0 :: v_dual_add_nc_u32 v17, s26, v2
	s_delay_alu instid0(VALU_DEP_1) | instskip(NEXT) | instid1(VALU_DEP_1)
	v_lshlrev_b64 v[17:18], 1, v[17:18]
	v_add_co_u32 v17, vcc_lo, s6, v17
	s_delay_alu instid0(VALU_DEP_2)
	v_add_co_ci_u32_e32 v18, vcc_lo, s7, v18, vcc_lo
	global_load_u16 v2, v[17:18], off
	s_waitcnt vmcnt(0)
	v_lshlrev_b32_e32 v14, 16, v2
.LBB55_23:
	v_cndmask_b32_e64 v22, 0, 1, s9
	s_and_not1_b32 vcc_lo, exec_lo, s9
	s_cbranch_vccnz .LBB55_25
; %bb.24:
	v_dual_mov_b32 v3, 0 :: v_dual_add_nc_u32 v2, s26, v3
	s_delay_alu instid0(VALU_DEP_1) | instskip(NEXT) | instid1(VALU_DEP_1)
	v_lshlrev_b64 v[2:3], 1, v[2:3]
	v_add_co_u32 v2, vcc_lo, s12, v2
	s_delay_alu instid0(VALU_DEP_2)
	v_add_co_ci_u32_e32 v3, vcc_lo, s13, v3, vcc_lo
	global_load_u16 v2, v[2:3], off
	s_waitcnt vmcnt(0)
	v_lshlrev_b32_e32 v15, 16, v2
.LBB55_25:
	v_cmp_ne_u32_e32 vcc_lo, 1, v19
	s_cbranch_vccnz .LBB55_27
; %bb.26:
	v_add_nc_u32_e32 v2, 2, v16
	v_add_nc_u32_e32 v17, 2, v12
	s_cbranch_execz .LBB55_28
	s_branch .LBB55_29
.LBB55_27:
                                        ; implicit-def: $vgpr2
	v_add_nc_u32_e32 v17, 2, v12
.LBB55_28:
	s_delay_alu instid0(VALU_DEP_1)
	v_mad_u64_u32 v[2:3], null, v17, s2, v[1:2]
.LBB55_29:
	v_cmp_ne_u32_e32 vcc_lo, 1, v20
	s_cbranch_vccnz .LBB55_31
; %bb.30:
	s_delay_alu instid0(VALU_DEP_2)
	v_mad_u64_u32 v[3:4], null, v17, s3, v[1:2]
	s_cbranch_execz .LBB55_32
	s_branch .LBB55_33
.LBB55_31:
                                        ; implicit-def: $vgpr3
.LBB55_32:
	v_add_nc_u32_e32 v3, 2, v13
.LBB55_33:
	v_cmp_ne_u32_e32 vcc_lo, 1, v21
	v_dual_mov_b32 v18, 0 :: v_dual_mov_b32 v17, 0
	s_cbranch_vccnz .LBB55_35
; %bb.34:
	v_dual_mov_b32 v24, 0 :: v_dual_add_nc_u32 v23, s26, v2
	s_delay_alu instid0(VALU_DEP_1) | instskip(NEXT) | instid1(VALU_DEP_1)
	v_lshlrev_b64 v[23:24], 1, v[23:24]
	v_add_co_u32 v23, vcc_lo, s6, v23
	s_delay_alu instid0(VALU_DEP_2)
	v_add_co_ci_u32_e32 v24, vcc_lo, s7, v24, vcc_lo
	global_load_u16 v2, v[23:24], off
	s_waitcnt vmcnt(0)
	v_lshlrev_b32_e32 v17, 16, v2
.LBB55_35:
	v_cmp_ne_u32_e32 vcc_lo, 1, v22
	s_cbranch_vccnz .LBB55_37
; %bb.36:
	v_dual_mov_b32 v3, 0 :: v_dual_add_nc_u32 v2, s26, v3
	s_delay_alu instid0(VALU_DEP_1) | instskip(NEXT) | instid1(VALU_DEP_1)
	v_lshlrev_b64 v[2:3], 1, v[2:3]
	v_add_co_u32 v2, vcc_lo, s12, v2
	s_delay_alu instid0(VALU_DEP_2)
	v_add_co_ci_u32_e32 v3, vcc_lo, s13, v3, vcc_lo
	global_load_u16 v2, v[2:3], off
	s_waitcnt vmcnt(0)
	v_lshlrev_b32_e32 v18, 16, v2
.LBB55_37:
	v_cmp_ne_u32_e32 vcc_lo, 1, v19
	s_cbranch_vccnz .LBB55_39
; %bb.38:
	v_add_nc_u32_e32 v2, 3, v16
	v_add_nc_u32_e32 v12, 3, v12
	s_cbranch_execz .LBB55_40
	s_branch .LBB55_41
.LBB55_39:
                                        ; implicit-def: $vgpr2
	v_add_nc_u32_e32 v12, 3, v12
.LBB55_40:
	s_delay_alu instid0(VALU_DEP_1)
	v_mad_u64_u32 v[2:3], null, v12, s2, v[1:2]
.LBB55_41:
	v_cmp_ne_u32_e32 vcc_lo, 1, v20
	s_cbranch_vccnz .LBB55_43
; %bb.42:
	s_delay_alu instid0(VALU_DEP_2)
	v_mad_u64_u32 v[3:4], null, v12, s3, v[1:2]
	s_cbranch_execz .LBB55_44
	s_branch .LBB55_45
.LBB55_43:
                                        ; implicit-def: $vgpr3
.LBB55_44:
	v_add_nc_u32_e32 v3, 3, v13
.LBB55_45:
	v_cmp_ne_u32_e32 vcc_lo, 1, v21
	v_dual_mov_b32 v13, 0 :: v_dual_mov_b32 v12, 0
	s_cbranch_vccnz .LBB55_47
; %bb.46:
	v_dual_mov_b32 v20, 0 :: v_dual_add_nc_u32 v19, s26, v2
	s_delay_alu instid0(VALU_DEP_1) | instskip(NEXT) | instid1(VALU_DEP_1)
	v_lshlrev_b64 v[19:20], 1, v[19:20]
	v_add_co_u32 v19, vcc_lo, s6, v19
	s_delay_alu instid0(VALU_DEP_2)
	v_add_co_ci_u32_e32 v20, vcc_lo, s7, v20, vcc_lo
	global_load_u16 v2, v[19:20], off
	s_waitcnt vmcnt(0)
	v_lshlrev_b32_e32 v12, 16, v2
.LBB55_47:
	v_cmp_ne_u32_e32 vcc_lo, 1, v22
	s_cbranch_vccnz .LBB55_49
; %bb.48:
	v_dual_mov_b32 v3, 0 :: v_dual_add_nc_u32 v2, s26, v3
	s_delay_alu instid0(VALU_DEP_1) | instskip(NEXT) | instid1(VALU_DEP_1)
	v_lshlrev_b64 v[2:3], 1, v[2:3]
	v_add_co_u32 v2, vcc_lo, s12, v2
	s_delay_alu instid0(VALU_DEP_2)
	v_add_co_ci_u32_e32 v3, vcc_lo, s13, v3, vcc_lo
	global_load_u16 v2, v[2:3], off
	s_waitcnt vmcnt(0)
	v_lshlrev_b32_e32 v13, 16, v2
.LBB55_49:
	v_mul_f32_e32 v3, s17, v10
	s_delay_alu instid0(VALU_DEP_1) | instskip(NEXT) | instid1(VALU_DEP_1)
	v_fmac_f32_e32 v3, s16, v11
	v_and_b32_e32 v2, 0x7f800000, v3
	s_delay_alu instid0(VALU_DEP_1) | instskip(SKIP_1) | instid1(SALU_CYCLE_1)
	v_cmp_ne_u32_e32 vcc_lo, 0x7f800000, v2
                                        ; implicit-def: $vgpr2
	s_and_saveexec_b32 s0, vcc_lo
	s_xor_b32 s0, exec_lo, s0
; %bb.50:
	v_bfe_u32 v2, v3, 16, 1
	s_delay_alu instid0(VALU_DEP_1)
	v_add3_u32 v2, v3, v2, 0x7fff
                                        ; implicit-def: $vgpr3
; %bb.51:
	s_and_not1_saveexec_b32 s0, s0
; %bb.52:
	v_and_b32_e32 v2, 0xffff, v3
	v_or_b32_e32 v4, 0x10000, v3
	s_delay_alu instid0(VALU_DEP_2) | instskip(NEXT) | instid1(VALU_DEP_2)
	v_cmp_eq_u32_e32 vcc_lo, 0, v2
	v_cndmask_b32_e32 v2, v4, v3, vcc_lo
; %bb.53:
	s_or_b32 exec_lo, exec_lo, s0
	s_load_b64 s[2:3], s[22:23], 0x4
	v_mul_f32_e32 v11, s17, v15
	v_bfe_u32 v10, v41, 10, 10
	v_bfe_u32 v4, v41, 20, 10
	v_lshrrev_b32_e32 v2, 16, v2
                                        ; implicit-def: $vgpr16
	s_delay_alu instid0(VALU_DEP_4) | instskip(NEXT) | instid1(VALU_DEP_1)
	v_fmac_f32_e32 v11, s16, v14
	v_and_b32_e32 v15, 0x7f800000, v11
	s_waitcnt lgkmcnt(0)
	s_lshr_b32 s0, s2, 16
	s_delay_alu instid0(SALU_CYCLE_1) | instskip(NEXT) | instid1(SALU_CYCLE_1)
	s_mul_i32 s0, s0, s3
	v_mul_lo_u32 v3, s0, v5
	s_mov_b32 s0, exec_lo
	s_delay_alu instid0(VALU_DEP_1) | instskip(NEXT) | instid1(VALU_DEP_1)
	v_mad_u32_u24 v14, v10, s3, v3
	v_add_lshl_u32 v14, v14, v4, 3
	ds_store_b16 v14, v2
	v_cmpx_ne_u32_e32 0x7f800000, v15
	s_xor_b32 s0, exec_lo, s0
; %bb.54:
	v_bfe_u32 v15, v11, 16, 1
	s_delay_alu instid0(VALU_DEP_1)
	v_add3_u32 v16, v11, v15, 0x7fff
                                        ; implicit-def: $vgpr11
; %bb.55:
	s_and_not1_saveexec_b32 s0, s0
; %bb.56:
	v_and_b32_e32 v15, 0xffff, v11
	v_or_b32_e32 v16, 0x10000, v11
	s_delay_alu instid0(VALU_DEP_2) | instskip(NEXT) | instid1(VALU_DEP_2)
	v_cmp_eq_u32_e32 vcc_lo, 0, v15
	v_cndmask_b32_e32 v16, v16, v11, vcc_lo
; %bb.57:
	s_or_b32 exec_lo, exec_lo, s0
	v_mul_f32_e32 v15, s17, v18
	s_delay_alu instid0(VALU_DEP_2) | instskip(SKIP_1) | instid1(VALU_DEP_2)
	v_lshrrev_b32_e32 v11, 16, v16
	s_mov_b32 s0, exec_lo
                                        ; implicit-def: $vgpr16
	v_fmac_f32_e32 v15, s16, v17
	ds_store_b16 v14, v11 offset:2
	v_and_b32_e32 v17, 0x7f800000, v15
	s_delay_alu instid0(VALU_DEP_1)
	v_cmpx_ne_u32_e32 0x7f800000, v17
	s_xor_b32 s0, exec_lo, s0
; %bb.58:
	v_bfe_u32 v16, v15, 16, 1
	s_delay_alu instid0(VALU_DEP_1)
	v_add3_u32 v16, v15, v16, 0x7fff
                                        ; implicit-def: $vgpr15
; %bb.59:
	s_and_not1_saveexec_b32 s0, s0
; %bb.60:
	v_and_b32_e32 v16, 0xffff, v15
	v_or_b32_e32 v17, 0x10000, v15
	s_delay_alu instid0(VALU_DEP_2) | instskip(NEXT) | instid1(VALU_DEP_2)
	v_cmp_eq_u32_e32 vcc_lo, 0, v16
	v_cndmask_b32_e32 v16, v17, v15, vcc_lo
; %bb.61:
	s_or_b32 exec_lo, exec_lo, s0
	v_mul_f32_e32 v13, s17, v13
	s_delay_alu instid0(VALU_DEP_1) | instskip(NEXT) | instid1(VALU_DEP_3)
	v_fmac_f32_e32 v13, s16, v12
	v_lshrrev_b32_e32 v12, 16, v16
	s_delay_alu instid0(VALU_DEP_2) | instskip(SKIP_3) | instid1(SALU_CYCLE_1)
	v_and_b32_e32 v15, 0x7f800000, v13
	ds_store_b16 v14, v12 offset:4
	v_cmp_ne_u32_e32 vcc_lo, 0x7f800000, v15
                                        ; implicit-def: $vgpr15
	s_and_saveexec_b32 s0, vcc_lo
	s_xor_b32 s0, exec_lo, s0
; %bb.62:
	v_bfe_u32 v15, v13, 16, 1
	s_delay_alu instid0(VALU_DEP_1)
	v_add3_u32 v15, v13, v15, 0x7fff
                                        ; implicit-def: $vgpr13
; %bb.63:
	s_and_not1_saveexec_b32 s0, s0
; %bb.64:
	v_and_b32_e32 v15, 0xffff, v13
	v_or_b32_e32 v16, 0x10000, v13
	s_delay_alu instid0(VALU_DEP_2) | instskip(NEXT) | instid1(VALU_DEP_2)
	v_cmp_eq_u32_e32 vcc_lo, 0, v15
	v_cndmask_b32_e32 v15, v16, v13, vcc_lo
; %bb.65:
	s_or_b32 exec_lo, exec_lo, s0
	s_delay_alu instid0(VALU_DEP_1)
	v_lshrrev_b32_e32 v13, 16, v15
	s_mov_b32 s0, exec_lo
	ds_store_b16 v14, v13 offset:6
	v_cmpx_ge_u32_e64 s1, v8
	s_xor_b32 s0, exec_lo, s0
	s_cbranch_execz .LBB55_67
; %bb.66:
	v_mul_lo_u32 v1, v1, s8
                                        ; implicit-def: $vgpr10
	s_delay_alu instid0(VALU_DEP_1) | instskip(NEXT) | instid1(VALU_DEP_1)
	v_add3_u32 v0, v0, s26, v1
	v_sub_nc_u32_e32 v0, v0, v9
	v_mov_b32_e32 v1, 0
                                        ; implicit-def: $vgpr9
	s_delay_alu instid0(VALU_DEP_2) | instskip(NEXT) | instid1(VALU_DEP_2)
	v_add_nc_u32_e32 v3, 1, v0
	v_lshlrev_b64 v[7:8], 1, v[0:1]
	v_add_nc_u32_e32 v5, 2, v0
	v_add_nc_u32_e32 v0, 3, v0
	v_mov_b32_e32 v4, v1
	v_mov_b32_e32 v6, v1
	v_add_co_u32 v7, vcc_lo, s4, v7
	s_delay_alu instid0(VALU_DEP_3) | instskip(NEXT) | instid1(VALU_DEP_3)
	v_lshlrev_b64 v[3:4], 1, v[3:4]
	v_lshlrev_b64 v[5:6], 1, v[5:6]
	v_add_co_ci_u32_e32 v8, vcc_lo, s5, v8, vcc_lo
	v_lshlrev_b64 v[0:1], 1, v[0:1]
	s_delay_alu instid0(VALU_DEP_4)
	v_add_co_u32 v3, vcc_lo, s4, v3
	v_add_co_ci_u32_e32 v4, vcc_lo, s5, v4, vcc_lo
	v_add_co_u32 v5, vcc_lo, s4, v5
	v_add_co_ci_u32_e32 v6, vcc_lo, s5, v6, vcc_lo
	v_add_co_u32 v0, vcc_lo, s4, v0
	v_add_co_ci_u32_e32 v1, vcc_lo, s5, v1, vcc_lo
	s_clause 0x3
	global_store_b16 v[7:8], v2, off
	global_store_b16 v[3:4], v11, off
	;; [unrolled: 1-line block ×4, first 2 shown]
                                        ; implicit-def: $vgpr5
                                        ; implicit-def: $vgpr6
                                        ; implicit-def: $vgpr7
                                        ; implicit-def: $vgpr0
                                        ; implicit-def: $vgpr8
                                        ; implicit-def: $vgpr4
                                        ; implicit-def: $vgpr3
.LBB55_67:
	s_and_not1_saveexec_b32 s0, s0
	s_cbranch_execz .LBB55_71
; %bb.68:
	v_cmp_gt_u32_e32 vcc_lo, 4, v9
	s_and_b32 exec_lo, exec_lo, vcc_lo
	s_cbranch_execz .LBB55_71
; %bb.69:
	v_mul_u32_u24_e32 v1, s3, v10
	v_lshrrev_b32_e32 v2, 4, v5
	s_lshl_b32 s0, s15, 4
	s_add_i32 s11, s11, s26
	s_delay_alu instid0(VALU_DEP_1) | instskip(SKIP_3) | instid1(VALU_DEP_3)
	v_add3_u32 v1, v1, v4, v2
	v_lshl_or_b32 v2, s21, 4, v6
	v_min_u32_e32 v4, s1, v8
	s_mov_b32 s1, 0
	v_add_lshl_u32 v1, v1, v3, 3
	s_delay_alu instid0(VALU_DEP_3) | instskip(NEXT) | instid1(VALU_DEP_3)
	v_subrev_nc_u32_e32 v2, s0, v2
	v_lshlrev_b32_e32 v3, 1, v4
	v_sub_nc_u32_e32 v0, v0, v4
	s_delay_alu instid0(VALU_DEP_4) | instskip(NEXT) | instid1(VALU_DEP_4)
	v_lshl_add_u32 v1, s14, 7, v1
	v_mul_lo_u32 v5, s8, v2
	s_delay_alu instid0(VALU_DEP_3) | instskip(NEXT) | instid1(VALU_DEP_3)
	v_add_nc_u32_e32 v2, 3, v0
	v_sub_nc_u32_e32 v1, v1, v3
	s_delay_alu instid0(VALU_DEP_3) | instskip(NEXT) | instid1(VALU_DEP_2)
	v_add3_u32 v0, s11, v5, v7
	v_add_nc_u32_e32 v3, 8, v1
	v_mov_b32_e32 v1, 0
	.p2align	6
.LBB55_70:                              ; =>This Inner Loop Header: Depth=1
	ds_load_u16 v6, v3
	v_lshlrev_b64 v[4:5], 1, v[0:1]
	v_add_nc_u32_e32 v2, 1, v2
	v_add_nc_u32_e32 v0, 1, v0
	;; [unrolled: 1-line block ×3, first 2 shown]
	s_delay_alu instid0(VALU_DEP_3) | instskip(SKIP_1) | instid1(VALU_DEP_1)
	v_cmp_lt_u32_e32 vcc_lo, 2, v2
	v_add_co_u32 v4, s0, s4, v4
	v_add_co_ci_u32_e64 v5, s0, s5, v5, s0
	s_or_b32 s1, vcc_lo, s1
	s_waitcnt lgkmcnt(0)
	global_store_b16 v[4:5], v6, off
	s_and_not1_b32 exec_lo, exec_lo, s1
	s_cbranch_execnz .LBB55_70
.LBB55_71:
	s_endpgm
	.section	.rodata,"a",@progbits
	.p2align	6, 0x0
	.amdhsa_kernel Transform_BF16_S_101_16_16_VW_4
		.amdhsa_group_segment_fixed_size 8192
		.amdhsa_private_segment_fixed_size 64
		.amdhsa_kernarg_size 344
		.amdhsa_user_sgpr_count 14
		.amdhsa_user_sgpr_dispatch_ptr 1
		.amdhsa_user_sgpr_queue_ptr 0
		.amdhsa_user_sgpr_kernarg_segment_ptr 1
		.amdhsa_user_sgpr_dispatch_id 0
		.amdhsa_user_sgpr_private_segment_size 0
		.amdhsa_wavefront_size32 1
		.amdhsa_uses_dynamic_stack 0
		.amdhsa_enable_private_segment 1
		.amdhsa_system_sgpr_workgroup_id_x 1
		.amdhsa_system_sgpr_workgroup_id_y 0
		.amdhsa_system_sgpr_workgroup_id_z 1
		.amdhsa_system_sgpr_workgroup_info 0
		.amdhsa_system_vgpr_workitem_id 2
		.amdhsa_next_free_vgpr 42
		.amdhsa_next_free_sgpr 34
		.amdhsa_reserve_vcc 1
		.amdhsa_float_round_mode_32 0
		.amdhsa_float_round_mode_16_64 0
		.amdhsa_float_denorm_mode_32 3
		.amdhsa_float_denorm_mode_16_64 3
		.amdhsa_dx10_clamp 1
		.amdhsa_ieee_mode 1
		.amdhsa_fp16_overflow 0
		.amdhsa_workgroup_processor_mode 1
		.amdhsa_memory_ordered 1
		.amdhsa_forward_progress 0
		.amdhsa_shared_vgpr_count 0
		.amdhsa_exception_fp_ieee_invalid_op 0
		.amdhsa_exception_fp_denorm_src 0
		.amdhsa_exception_fp_ieee_div_zero 0
		.amdhsa_exception_fp_ieee_overflow 0
		.amdhsa_exception_fp_ieee_underflow 0
		.amdhsa_exception_fp_ieee_inexact 0
		.amdhsa_exception_int_div_zero 0
	.end_amdhsa_kernel
	.text
.Lfunc_end55:
	.size	Transform_BF16_S_101_16_16_VW_4, .Lfunc_end55-Transform_BF16_S_101_16_16_VW_4
                                        ; -- End function
	.section	.AMDGPU.csdata,"",@progbits
; Kernel info:
; codeLenInByte = 2344
; NumSgprs: 36
; NumVgprs: 42
; ScratchSize: 64
; MemoryBound: 0
; FloatMode: 240
; IeeeMode: 1
; LDSByteSize: 8192 bytes/workgroup (compile time only)
; SGPRBlocks: 4
; VGPRBlocks: 5
; NumSGPRsForWavesPerEU: 36
; NumVGPRsForWavesPerEU: 42
; Occupancy: 16
; WaveLimiterHint : 1
; COMPUTE_PGM_RSRC2:SCRATCH_EN: 1
; COMPUTE_PGM_RSRC2:USER_SGPR: 14
; COMPUTE_PGM_RSRC2:TRAP_HANDLER: 0
; COMPUTE_PGM_RSRC2:TGID_X_EN: 1
; COMPUTE_PGM_RSRC2:TGID_Y_EN: 0
; COMPUTE_PGM_RSRC2:TGID_Z_EN: 1
; COMPUTE_PGM_RSRC2:TIDIG_COMP_CNT: 2
	.text
	.protected	Transform_BF16_S_100_16_16_VW_1 ; -- Begin function Transform_BF16_S_100_16_16_VW_1
	.globl	Transform_BF16_S_100_16_16_VW_1
	.p2align	8
	.type	Transform_BF16_S_100_16_16_VW_1,@function
Transform_BF16_S_100_16_16_VW_1:        ; @Transform_BF16_S_100_16_16_VW_1
; %bb.0:
	s_mov_b64 s[22:23], s[0:1]
	s_load_b32 s0, s[0:1], 0x64
	v_mov_b32_e32 v41, v0
	s_mov_b32 s21, s15
	s_mov_b32 s24, s14
	;; [unrolled: 1-line block ×3, first 2 shown]
	s_waitcnt lgkmcnt(0)
	v_cmp_eq_u16_e64 s0, 0x100, s0
	s_delay_alu instid0(VALU_DEP_1)
	s_and_b32 vcc_lo, exec_lo, s0
	s_mov_b32 s0, -1
	s_cbranch_vccnz .LBB56_2
; %bb.1:
	s_add_u32 s8, s22, 0x58
	s_addc_u32 s9, s23, 0
	s_getpc_b64 s[0:1]
	s_add_u32 s0, s0, __PRETTY_FUNCTION__._ZN10amd_detail9transformI12hip_bfloat16fLb1ELb0ELb0ELj16ELj16ELj1EEEvPT_PKS2_S5_T0_PKS6_S6_S8_jjjjjjbb@rel32@lo+4
	s_addc_u32 s1, s1, __PRETTY_FUNCTION__._ZN10amd_detail9transformI12hip_bfloat16fLb1ELb0ELb0ELj16ELj16ELj1EEEvPT_PKS2_S5_T0_PKS6_S6_S8_jjjjjjbb@rel32@hi+12
	s_delay_alu instid0(SALU_CYCLE_1) | instskip(SKIP_3) | instid1(SALU_CYCLE_1)
	v_dual_mov_b32 v0, s0 :: v_dual_mov_b32 v1, s1
	s_getpc_b64 s[2:3]
	s_add_u32 s2, s2, __assert_fail@rel32@lo+4
	s_addc_u32 s3, s3, __assert_fail@rel32@hi+12
	s_swappc_b64 s[30:31], s[2:3]
	; divergent unreachable
	s_mov_b32 s0, 0
.LBB56_2:
	s_delay_alu instid0(SALU_CYCLE_1)
	s_and_not1_b32 vcc_lo, exec_lo, s0
	s_cbranch_vccnz .LBB56_18
; %bb.3:
	s_load_b256 s[0:7], s[22:23], 0x38
	s_waitcnt lgkmcnt(0)
	s_and_b32 s7, s0, 15
	s_lshr_b32 s8, s0, 4
	s_cmp_lg_u32 s7, 0
	s_cselect_b32 s7, -1, 0
	s_delay_alu instid0(SALU_CYCLE_1) | instskip(SKIP_4) | instid1(VALU_DEP_1)
	s_cmp_lg_u32 s7, 0
	s_addc_u32 s10, s8, 0
	s_load_b64 s[8:9], s[22:23], 0x20
	v_cvt_f32_u32_e32 v0, s10
	s_sub_i32 s11, 0, s10
	v_rcp_iflag_f32_e32 v0, v0
	s_waitcnt_depctr 0xfff
	v_mul_f32_e32 v0, 0x4f7ffffe, v0
	s_delay_alu instid0(VALU_DEP_1) | instskip(NEXT) | instid1(VALU_DEP_1)
	v_cvt_u32_f32_e32 v0, v0
	v_readfirstlane_b32 s7, v0
	s_delay_alu instid0(VALU_DEP_1) | instskip(NEXT) | instid1(SALU_CYCLE_1)
	s_mul_i32 s11, s11, s7
	s_mul_hi_u32 s11, s7, s11
	s_delay_alu instid0(SALU_CYCLE_1)
	s_add_i32 s7, s7, s11
	s_waitcnt lgkmcnt(0)
	s_cmp_eq_u64 s[8:9], 0
	s_mul_hi_u32 s11, s24, s7
	s_cbranch_scc1 .LBB56_6
; %bb.4:
	s_load_b32 s7, s[8:9], 0x0
	s_load_b64 s[8:9], s[22:23], 0x30
	s_waitcnt lgkmcnt(0)
	s_cmp_eq_u64 s[8:9], 0
	s_cbranch_scc1 .LBB56_7
.LBB56_5:
	s_load_b32 s12, s[8:9], 0x0
	s_branch .LBB56_8
.LBB56_6:
	s_clause 0x1
	s_load_b32 s7, s[22:23], 0x18
	s_load_b64 s[8:9], s[22:23], 0x30
	s_waitcnt lgkmcnt(0)
	s_cmp_eq_u64 s[8:9], 0
	s_cbranch_scc0 .LBB56_5
.LBB56_7:
	s_load_b32 s12, s[22:23], 0x28
.LBB56_8:
	s_mul_i32 s8, s11, s10
	s_add_i32 s9, s11, 1
	s_sub_i32 s8, s24, s8
	v_and_b32_e32 v0, 15, v41
	s_sub_i32 s13, s8, s10
	s_cmp_ge_u32 s8, s10
	v_lshrrev_b32_e32 v1, 4, v41
	s_cselect_b32 s9, s9, s11
	s_cselect_b32 s8, s13, s8
	s_add_i32 s11, s9, 1
	s_cmp_ge_u32 s8, s10
	s_cselect_b32 s8, s11, s9
	s_delay_alu instid0(SALU_CYCLE_1) | instskip(SKIP_2) | instid1(SALU_CYCLE_1)
	s_mul_i32 s9, s8, s10
	v_lshl_add_u32 v1, s8, 4, v1
	s_sub_i32 s9, s24, s9
	v_lshl_or_b32 v0, s9, 4, v0
	s_delay_alu instid0(VALU_DEP_1) | instskip(NEXT) | instid1(VALU_DEP_3)
	v_cmp_gt_u32_e32 vcc_lo, s0, v0
	v_cmp_gt_u32_e64 s0, s1, v1
	s_delay_alu instid0(VALU_DEP_1) | instskip(NEXT) | instid1(SALU_CYCLE_1)
	s_and_b32 s0, vcc_lo, s0
	s_and_saveexec_b32 s1, s0
	s_cbranch_execz .LBB56_18
; %bb.9:
	s_clause 0x1
	s_load_b128 s[8:11], s[22:23], 0x0
	s_load_b64 s[0:1], s[22:23], 0x10
	v_dual_mov_b32 v3, 0 :: v_dual_mov_b32 v2, 0
	s_mul_i32 s21, s21, s5
	s_waitcnt lgkmcnt(0)
	s_cmp_eq_u64 s[10:11], 0
	s_cbranch_scc1 .LBB56_11
; %bb.10:
	s_bitcmp1_b32 s6, 0
	v_mov_b32_e32 v5, 0
	s_cselect_b32 vcc_lo, -1, 0
	v_cndmask_b32_e32 v2, v0, v1, vcc_lo
	v_cndmask_b32_e32 v4, v1, v0, vcc_lo
	s_delay_alu instid0(VALU_DEP_2) | instskip(NEXT) | instid1(VALU_DEP_1)
	v_mul_lo_u32 v2, v2, s2
	v_add3_u32 v4, v4, s21, v2
	s_delay_alu instid0(VALU_DEP_1) | instskip(NEXT) | instid1(VALU_DEP_1)
	v_lshlrev_b64 v[4:5], 1, v[4:5]
	v_add_co_u32 v4, vcc_lo, s10, v4
	s_delay_alu instid0(VALU_DEP_2)
	v_add_co_ci_u32_e32 v5, vcc_lo, s11, v5, vcc_lo
	global_load_u16 v2, v[4:5], off
	s_waitcnt vmcnt(0)
	v_lshlrev_b32_e32 v2, 16, v2
.LBB56_11:
	s_cmp_eq_u64 s[0:1], 0
	s_cbranch_scc1 .LBB56_13
; %bb.12:
	s_load_b32 s2, s[22:23], 0x50
	v_mov_b32_e32 v4, 0
	s_waitcnt lgkmcnt(0)
	s_bitcmp1_b32 s2, 8
	s_cselect_b32 vcc_lo, -1, 0
	v_cndmask_b32_e32 v3, v1, v0, vcc_lo
	v_cndmask_b32_e32 v5, v0, v1, vcc_lo
	s_delay_alu instid0(VALU_DEP_2) | instskip(NEXT) | instid1(VALU_DEP_1)
	v_mul_lo_u32 v3, v3, s3
	v_add3_u32 v3, v5, s21, v3
	s_delay_alu instid0(VALU_DEP_1) | instskip(NEXT) | instid1(VALU_DEP_1)
	v_lshlrev_b64 v[3:4], 1, v[3:4]
	v_add_co_u32 v3, vcc_lo, s0, v3
	s_delay_alu instid0(VALU_DEP_2)
	v_add_co_ci_u32_e32 v4, vcc_lo, s1, v4, vcc_lo
	global_load_u16 v3, v[3:4], off
	s_waitcnt vmcnt(0)
	v_lshlrev_b32_e32 v3, 16, v3
.LBB56_13:
	s_delay_alu instid0(VALU_DEP_1) | instskip(NEXT) | instid1(VALU_DEP_1)
	v_mul_f32_e32 v3, s12, v3
	v_fmac_f32_e32 v3, s7, v2
	s_delay_alu instid0(VALU_DEP_1) | instskip(NEXT) | instid1(VALU_DEP_1)
	v_and_b32_e32 v2, 0x7f800000, v3
	v_cmp_ne_u32_e32 vcc_lo, 0x7f800000, v2
                                        ; implicit-def: $vgpr2
	s_and_saveexec_b32 s0, vcc_lo
	s_delay_alu instid0(SALU_CYCLE_1)
	s_xor_b32 s0, exec_lo, s0
; %bb.14:
	v_bfe_u32 v2, v3, 16, 1
	s_delay_alu instid0(VALU_DEP_1)
	v_add3_u32 v2, v3, v2, 0x7fff
                                        ; implicit-def: $vgpr3
; %bb.15:
	s_and_not1_saveexec_b32 s0, s0
; %bb.16:
	v_and_b32_e32 v2, 0xffff, v3
	v_or_b32_e32 v4, 0x10000, v3
	s_delay_alu instid0(VALU_DEP_2) | instskip(NEXT) | instid1(VALU_DEP_2)
	v_cmp_eq_u32_e32 vcc_lo, 0, v2
	v_cndmask_b32_e32 v2, v4, v3, vcc_lo
; %bb.17:
	s_or_b32 exec_lo, exec_lo, s0
	v_mul_lo_u32 v3, v1, s4
	v_mov_b32_e32 v1, 0
	s_delay_alu instid0(VALU_DEP_2) | instskip(NEXT) | instid1(VALU_DEP_1)
	v_add3_u32 v0, v0, s21, v3
	v_lshlrev_b64 v[0:1], 1, v[0:1]
	s_delay_alu instid0(VALU_DEP_1) | instskip(NEXT) | instid1(VALU_DEP_2)
	v_add_co_u32 v0, vcc_lo, s8, v0
	v_add_co_ci_u32_e32 v1, vcc_lo, s9, v1, vcc_lo
	global_store_d16_hi_b16 v[0:1], v2, off
.LBB56_18:
	s_endpgm
	.section	.rodata,"a",@progbits
	.p2align	6, 0x0
	.amdhsa_kernel Transform_BF16_S_100_16_16_VW_1
		.amdhsa_group_segment_fixed_size 0
		.amdhsa_private_segment_fixed_size 64
		.amdhsa_kernarg_size 344
		.amdhsa_user_sgpr_count 14
		.amdhsa_user_sgpr_dispatch_ptr 0
		.amdhsa_user_sgpr_queue_ptr 0
		.amdhsa_user_sgpr_kernarg_segment_ptr 1
		.amdhsa_user_sgpr_dispatch_id 0
		.amdhsa_user_sgpr_private_segment_size 0
		.amdhsa_wavefront_size32 1
		.amdhsa_uses_dynamic_stack 0
		.amdhsa_enable_private_segment 1
		.amdhsa_system_sgpr_workgroup_id_x 1
		.amdhsa_system_sgpr_workgroup_id_y 0
		.amdhsa_system_sgpr_workgroup_id_z 1
		.amdhsa_system_sgpr_workgroup_info 0
		.amdhsa_system_vgpr_workitem_id 0
		.amdhsa_next_free_vgpr 42
		.amdhsa_next_free_sgpr 34
		.amdhsa_reserve_vcc 1
		.amdhsa_float_round_mode_32 0
		.amdhsa_float_round_mode_16_64 0
		.amdhsa_float_denorm_mode_32 3
		.amdhsa_float_denorm_mode_16_64 3
		.amdhsa_dx10_clamp 1
		.amdhsa_ieee_mode 1
		.amdhsa_fp16_overflow 0
		.amdhsa_workgroup_processor_mode 1
		.amdhsa_memory_ordered 1
		.amdhsa_forward_progress 0
		.amdhsa_shared_vgpr_count 0
		.amdhsa_exception_fp_ieee_invalid_op 0
		.amdhsa_exception_fp_denorm_src 0
		.amdhsa_exception_fp_ieee_div_zero 0
		.amdhsa_exception_fp_ieee_overflow 0
		.amdhsa_exception_fp_ieee_underflow 0
		.amdhsa_exception_fp_ieee_inexact 0
		.amdhsa_exception_int_div_zero 0
	.end_amdhsa_kernel
	.text
.Lfunc_end56:
	.size	Transform_BF16_S_100_16_16_VW_1, .Lfunc_end56-Transform_BF16_S_100_16_16_VW_1
                                        ; -- End function
	.section	.AMDGPU.csdata,"",@progbits
; Kernel info:
; codeLenInByte = 848
; NumSgprs: 36
; NumVgprs: 42
; ScratchSize: 64
; MemoryBound: 0
; FloatMode: 240
; IeeeMode: 1
; LDSByteSize: 0 bytes/workgroup (compile time only)
; SGPRBlocks: 4
; VGPRBlocks: 5
; NumSGPRsForWavesPerEU: 36
; NumVGPRsForWavesPerEU: 42
; Occupancy: 16
; WaveLimiterHint : 1
; COMPUTE_PGM_RSRC2:SCRATCH_EN: 1
; COMPUTE_PGM_RSRC2:USER_SGPR: 14
; COMPUTE_PGM_RSRC2:TRAP_HANDLER: 0
; COMPUTE_PGM_RSRC2:TGID_X_EN: 1
; COMPUTE_PGM_RSRC2:TGID_Y_EN: 0
; COMPUTE_PGM_RSRC2:TGID_Z_EN: 1
; COMPUTE_PGM_RSRC2:TIDIG_COMP_CNT: 0
	.text
	.protected	Transform_BF16_S_100_16_16_VW_4 ; -- Begin function Transform_BF16_S_100_16_16_VW_4
	.globl	Transform_BF16_S_100_16_16_VW_4
	.p2align	8
	.type	Transform_BF16_S_100_16_16_VW_4,@function
Transform_BF16_S_100_16_16_VW_4:        ; @Transform_BF16_S_100_16_16_VW_4
; %bb.0:
	s_mov_b64 s[22:23], s[0:1]
	s_load_b32 s0, s[2:3], 0x64
	v_mov_b32_e32 v41, v0
	s_mov_b32 s26, s15
	s_mov_b64 s[24:25], s[2:3]
	s_mov_b32 s21, s14
	s_mov_b32 s32, 0
	s_waitcnt lgkmcnt(0)
	v_cmp_eq_u16_e64 s0, 0x100, s0
	s_delay_alu instid0(VALU_DEP_1)
	s_and_b32 vcc_lo, exec_lo, s0
	s_mov_b32 s0, -1
	s_cbranch_vccnz .LBB57_2
; %bb.1:
	s_add_u32 s8, s24, 0x58
	s_addc_u32 s9, s25, 0
	s_getpc_b64 s[0:1]
	s_add_u32 s0, s0, __PRETTY_FUNCTION__._ZN10amd_detail9transformI12hip_bfloat16fLb1ELb0ELb0ELj16ELj16ELj4EEEvPT_PKS2_S5_T0_PKS6_S6_S8_jjjjjjbb@rel32@lo+4
	s_addc_u32 s1, s1, __PRETTY_FUNCTION__._ZN10amd_detail9transformI12hip_bfloat16fLb1ELb0ELb0ELj16ELj16ELj4EEEvPT_PKS2_S5_T0_PKS6_S6_S8_jjjjjjbb@rel32@hi+12
	s_delay_alu instid0(SALU_CYCLE_1) | instskip(SKIP_3) | instid1(SALU_CYCLE_1)
	v_dual_mov_b32 v0, s0 :: v_dual_mov_b32 v1, s1
	s_getpc_b64 s[2:3]
	s_add_u32 s2, s2, __assert_fail@rel32@lo+4
	s_addc_u32 s3, s3, __assert_fail@rel32@hi+12
	s_swappc_b64 s[30:31], s[2:3]
	; divergent unreachable
	s_mov_b32 s0, 0
.LBB57_2:
	s_delay_alu instid0(SALU_CYCLE_1)
	s_and_not1_b32 vcc_lo, exec_lo, s0
	s_cbranch_vccnz .LBB57_71
; %bb.3:
	s_load_b256 s[4:11], s[24:25], 0x38
	s_waitcnt lgkmcnt(0)
	s_and_b32 s0, s4, 63
	s_lshr_b32 s1, s4, 6
	s_cmp_lg_u32 s0, 0
	s_cselect_b32 s0, -1, 0
	s_delay_alu instid0(SALU_CYCLE_1) | instskip(SKIP_4) | instid1(VALU_DEP_1)
	s_cmp_lg_u32 s0, 0
	s_addc_u32 s2, s1, 0
	s_load_b64 s[0:1], s[24:25], 0x20
	v_cvt_f32_u32_e32 v0, s2
	s_sub_i32 s11, 0, s2
	v_rcp_iflag_f32_e32 v0, v0
	s_waitcnt_depctr 0xfff
	v_mul_f32_e32 v0, 0x4f7ffffe, v0
	s_delay_alu instid0(VALU_DEP_1) | instskip(NEXT) | instid1(VALU_DEP_1)
	v_cvt_u32_f32_e32 v0, v0
	v_readfirstlane_b32 s3, v0
	s_delay_alu instid0(VALU_DEP_1) | instskip(NEXT) | instid1(SALU_CYCLE_1)
	s_mul_i32 s11, s11, s3
	s_mul_hi_u32 s11, s3, s11
	s_delay_alu instid0(SALU_CYCLE_1)
	s_add_i32 s3, s3, s11
	s_waitcnt lgkmcnt(0)
	s_cmp_eq_u64 s[0:1], 0
	s_mul_hi_u32 s3, s21, s3
	s_cbranch_scc1 .LBB57_6
; %bb.4:
	s_load_b32 s11, s[0:1], 0x0
	s_load_b64 s[0:1], s[24:25], 0x30
	s_waitcnt lgkmcnt(0)
	s_cmp_eq_u64 s[0:1], 0
	s_cbranch_scc1 .LBB57_7
.LBB57_5:
	s_load_b32 s16, s[0:1], 0x0
	s_branch .LBB57_8
.LBB57_6:
	s_clause 0x1
	s_load_b32 s11, s[24:25], 0x18
	s_load_b64 s[0:1], s[24:25], 0x30
	s_waitcnt lgkmcnt(0)
	s_cmp_eq_u64 s[0:1], 0
	s_cbranch_scc0 .LBB57_5
.LBB57_7:
	s_load_b32 s16, s[24:25], 0x28
.LBB57_8:
	s_mul_i32 s0, s3, s2
	v_and_b32_e32 v7, 0x3ff, v41
	s_sub_i32 s0, s21, s0
	s_add_i32 s1, s3, 1
	s_sub_i32 s12, s0, s2
	s_cmp_ge_u32 s0, s2
	v_lshrrev_b32_e32 v0, 4, v7
	s_cselect_b32 s1, s1, s3
	s_cselect_b32 s0, s12, s0
	s_add_i32 s3, s1, 1
	s_cmp_ge_u32 s0, s2
	s_cselect_b32 s0, s3, s1
	s_mov_b32 s1, exec_lo
	v_lshl_add_u32 v0, s0, 4, v0
	s_delay_alu instid0(VALU_DEP_1)
	v_cmpx_gt_u32_e64 s5, v0
	s_cbranch_execz .LBB57_71
; %bb.9:
	v_dual_mov_b32 v12, 0 :: v_dual_lshlrev_b32 v1, 2, v7
	s_mul_i32 s5, s0, s2
	s_clause 0x1
	s_load_b128 s[12:15], s[24:25], 0x0
	s_load_b64 s[2:3], s[24:25], 0x10
	v_dual_mov_b32 v13, 0 :: v_dual_and_b32 v8, 60, v1
	s_sub_i32 s0, s21, s5
	s_bitcmp1_b32 s10, 0
	s_mul_i32 s26, s26, s9
	s_delay_alu instid0(VALU_DEP_1) | instskip(SKIP_1) | instid1(VALU_DEP_1)
	v_lshl_or_b32 v10, s0, 6, v8
	s_cselect_b32 vcc_lo, -1, 0
	v_add_nc_u32_e32 v11, 4, v10
	s_delay_alu instid0(VALU_DEP_1) | instskip(SKIP_3) | instid1(VALU_DEP_1)
	v_sub_nc_u32_e64 v9, v11, s4 clamp
	s_waitcnt lgkmcnt(0)
	s_cmp_lg_u64 s[14:15], 0
	s_cselect_b32 s1, -1, 0
	v_sub_nc_u32_e32 v3, v10, v9
	s_cmp_eq_u64 s[14:15], 0
	s_delay_alu instid0(VALU_DEP_1)
	v_mad_u64_u32 v[1:2], null, v0, s6, v[3:4]
	s_cbranch_scc1 .LBB57_11
; %bb.10:
	s_delay_alu instid0(VALU_DEP_1) | instskip(NEXT) | instid1(VALU_DEP_1)
	v_mad_u64_u32 v[4:5], null, v3, s6, v[0:1]
	v_dual_mov_b32 v5, 0 :: v_dual_cndmask_b32 v2, v4, v1
	s_delay_alu instid0(VALU_DEP_1) | instskip(NEXT) | instid1(VALU_DEP_1)
	v_add_nc_u32_e32 v4, s26, v2
	v_lshlrev_b64 v[4:5], 1, v[4:5]
	s_delay_alu instid0(VALU_DEP_1) | instskip(NEXT) | instid1(VALU_DEP_1)
	v_add_co_u32 v4, s0, s14, v4
	v_add_co_ci_u32_e64 v5, s0, s15, v5, s0
	global_load_u16 v2, v[4:5], off
	s_waitcnt vmcnt(0)
	v_lshlrev_b32_e32 v12, 16, v2
.LBB57_11:
	s_load_b32 s0, s[24:25], 0x50
	v_mad_u64_u32 v[4:5], null, v0, s7, v[3:4]
	v_mul_lo_u32 v14, v3, s7
	s_xor_b32 s10, vcc_lo, -1
	s_waitcnt lgkmcnt(0)
	s_bitcmp1_b32 s0, 8
	s_cselect_b32 s0, -1, 0
	s_cmp_lg_u64 s[2:3], 0
	s_cselect_b32 s9, -1, 0
	s_cmp_eq_u64 s[2:3], 0
	s_cbranch_scc1 .LBB57_13
; %bb.12:
	v_add_nc_u32_e32 v2, v14, v0
	s_delay_alu instid0(VALU_DEP_1) | instskip(NEXT) | instid1(VALU_DEP_1)
	v_cndmask_b32_e64 v2, v4, v2, s0
	v_dual_mov_b32 v6, 0 :: v_dual_add_nc_u32 v5, s26, v2
	s_delay_alu instid0(VALU_DEP_1) | instskip(NEXT) | instid1(VALU_DEP_1)
	v_lshlrev_b64 v[5:6], 1, v[5:6]
	v_add_co_u32 v5, vcc_lo, s2, v5
	s_delay_alu instid0(VALU_DEP_2)
	v_add_co_ci_u32_e32 v6, vcc_lo, s3, v6, vcc_lo
	global_load_u16 v2, v[5:6], off
	s_waitcnt vmcnt(0)
	v_lshlrev_b32_e32 v13, 16, v2
.LBB57_13:
	v_cndmask_b32_e64 v2, 0, 1, s10
	s_and_not1_b32 vcc_lo, exec_lo, s10
	s_cbranch_vccnz .LBB57_15
; %bb.14:
	v_mul_lo_u32 v5, s6, v3
	s_delay_alu instid0(VALU_DEP_1)
	v_add3_u32 v5, v5, s6, v0
	s_xor_b32 s0, s0, -1
	s_cbranch_execz .LBB57_16
	s_branch .LBB57_17
.LBB57_15:
                                        ; implicit-def: $vgpr5
	s_xor_b32 s0, s0, -1
.LBB57_16:
	v_add_nc_u32_e32 v5, 1, v1
.LBB57_17:
	v_cndmask_b32_e64 v18, 0, 1, s0
	s_and_not1_b32 vcc_lo, exec_lo, s0
	s_cbranch_vccnz .LBB57_19
; %bb.18:
	v_add_nc_u32_e32 v6, 1, v4
	s_cbranch_execz .LBB57_20
	s_branch .LBB57_21
.LBB57_19:
                                        ; implicit-def: $vgpr6
.LBB57_20:
	v_add3_u32 v6, v14, s7, v0
.LBB57_21:
	v_cndmask_b32_e64 v19, 0, 1, s1
	v_dual_mov_b32 v16, 0 :: v_dual_mov_b32 v15, 0
	s_and_not1_b32 vcc_lo, exec_lo, s1
	s_cbranch_vccnz .LBB57_23
; %bb.22:
	v_dual_mov_b32 v21, 0 :: v_dual_add_nc_u32 v20, s26, v5
	s_delay_alu instid0(VALU_DEP_1) | instskip(NEXT) | instid1(VALU_DEP_1)
	v_lshlrev_b64 v[20:21], 1, v[20:21]
	v_add_co_u32 v20, vcc_lo, s14, v20
	s_delay_alu instid0(VALU_DEP_2)
	v_add_co_ci_u32_e32 v21, vcc_lo, s15, v21, vcc_lo
	global_load_u16 v5, v[20:21], off
	s_waitcnt vmcnt(0)
	v_lshlrev_b32_e32 v15, 16, v5
.LBB57_23:
	v_cndmask_b32_e64 v20, 0, 1, s9
	s_and_not1_b32 vcc_lo, exec_lo, s9
	s_cbranch_vccnz .LBB57_25
; %bb.24:
	v_dual_mov_b32 v6, 0 :: v_dual_add_nc_u32 v5, s26, v6
	s_delay_alu instid0(VALU_DEP_1) | instskip(NEXT) | instid1(VALU_DEP_1)
	v_lshlrev_b64 v[5:6], 1, v[5:6]
	v_add_co_u32 v5, vcc_lo, s2, v5
	s_delay_alu instid0(VALU_DEP_2)
	v_add_co_ci_u32_e32 v6, vcc_lo, s3, v6, vcc_lo
	global_load_u16 v5, v[5:6], off
	s_waitcnt vmcnt(0)
	v_lshlrev_b32_e32 v16, 16, v5
.LBB57_25:
	v_cmp_ne_u32_e32 vcc_lo, 1, v2
	s_cbranch_vccnz .LBB57_27
; %bb.26:
	v_add_nc_u32_e32 v17, 2, v3
	s_delay_alu instid0(VALU_DEP_1)
	v_mad_u64_u32 v[5:6], null, v17, s6, v[0:1]
	s_cbranch_execz .LBB57_28
	s_branch .LBB57_29
.LBB57_27:
                                        ; implicit-def: $vgpr5
.LBB57_28:
	v_add_nc_u32_e32 v5, 2, v1
.LBB57_29:
	v_cmp_ne_u32_e32 vcc_lo, 1, v18
	s_cbranch_vccnz .LBB57_31
; %bb.30:
	v_add_nc_u32_e32 v21, 2, v4
	s_cbranch_execz .LBB57_32
	s_branch .LBB57_33
.LBB57_31:
                                        ; implicit-def: $vgpr21
.LBB57_32:
	s_lshl_b32 s0, s7, 1
	s_delay_alu instid0(SALU_CYCLE_1)
	v_add3_u32 v21, v14, s0, v0
.LBB57_33:
	v_cmp_ne_u32_e32 vcc_lo, 1, v19
	v_dual_mov_b32 v17, 0 :: v_dual_mov_b32 v6, 0
	s_cbranch_vccnz .LBB57_35
; %bb.34:
	v_dual_mov_b32 v6, 0 :: v_dual_add_nc_u32 v5, s26, v5
	s_delay_alu instid0(VALU_DEP_1) | instskip(NEXT) | instid1(VALU_DEP_1)
	v_lshlrev_b64 v[5:6], 1, v[5:6]
	v_add_co_u32 v5, vcc_lo, s14, v5
	s_delay_alu instid0(VALU_DEP_2)
	v_add_co_ci_u32_e32 v6, vcc_lo, s15, v6, vcc_lo
	global_load_u16 v5, v[5:6], off
	s_waitcnt vmcnt(0)
	v_lshlrev_b32_e32 v6, 16, v5
.LBB57_35:
	v_cmp_ne_u32_e32 vcc_lo, 1, v20
	s_cbranch_vccnz .LBB57_37
; %bb.36:
	v_dual_mov_b32 v22, 0 :: v_dual_add_nc_u32 v21, s26, v21
	s_delay_alu instid0(VALU_DEP_1) | instskip(NEXT) | instid1(VALU_DEP_1)
	v_lshlrev_b64 v[21:22], 1, v[21:22]
	v_add_co_u32 v21, vcc_lo, s2, v21
	s_delay_alu instid0(VALU_DEP_2)
	v_add_co_ci_u32_e32 v22, vcc_lo, s3, v22, vcc_lo
	global_load_u16 v5, v[21:22], off
	s_waitcnt vmcnt(0)
	v_lshlrev_b32_e32 v17, 16, v5
.LBB57_37:
	v_cmp_ne_u32_e32 vcc_lo, 1, v2
	s_cbranch_vccnz .LBB57_39
; %bb.38:
	v_add_nc_u32_e32 v5, 3, v3
	s_delay_alu instid0(VALU_DEP_1)
	v_mad_u64_u32 v[2:3], null, v5, s6, v[0:1]
	s_cbranch_execz .LBB57_40
	s_branch .LBB57_41
.LBB57_39:
                                        ; implicit-def: $vgpr2
.LBB57_40:
	v_add_nc_u32_e32 v2, 3, v1
.LBB57_41:
	v_cmp_ne_u32_e32 vcc_lo, 1, v18
	s_cbranch_vccnz .LBB57_43
; %bb.42:
	v_add_nc_u32_e32 v1, 3, v4
	s_cbranch_execz .LBB57_44
	s_branch .LBB57_45
.LBB57_43:
                                        ; implicit-def: $vgpr1
.LBB57_44:
	s_mul_i32 s0, s7, 3
	s_delay_alu instid0(SALU_CYCLE_1)
	v_add3_u32 v1, v14, s0, v0
.LBB57_45:
	v_cmp_ne_u32_e32 vcc_lo, 1, v19
	v_dual_mov_b32 v14, 0 :: v_dual_mov_b32 v5, 0
	s_cbranch_vccnz .LBB57_47
; %bb.46:
	v_dual_mov_b32 v3, 0 :: v_dual_add_nc_u32 v2, s26, v2
	s_delay_alu instid0(VALU_DEP_1) | instskip(NEXT) | instid1(VALU_DEP_1)
	v_lshlrev_b64 v[2:3], 1, v[2:3]
	v_add_co_u32 v2, vcc_lo, s14, v2
	s_delay_alu instid0(VALU_DEP_2)
	v_add_co_ci_u32_e32 v3, vcc_lo, s15, v3, vcc_lo
	global_load_u16 v2, v[2:3], off
	s_waitcnt vmcnt(0)
	v_lshlrev_b32_e32 v5, 16, v2
.LBB57_47:
	v_cmp_ne_u32_e32 vcc_lo, 1, v20
	s_cbranch_vccnz .LBB57_49
; %bb.48:
	v_dual_mov_b32 v2, 0 :: v_dual_add_nc_u32 v1, s26, v1
	s_delay_alu instid0(VALU_DEP_1) | instskip(NEXT) | instid1(VALU_DEP_1)
	v_lshlrev_b64 v[1:2], 1, v[1:2]
	v_add_co_u32 v1, vcc_lo, s2, v1
	s_delay_alu instid0(VALU_DEP_2)
	v_add_co_ci_u32_e32 v2, vcc_lo, s3, v2, vcc_lo
	global_load_u16 v1, v[1:2], off
	s_waitcnt vmcnt(0)
	v_lshlrev_b32_e32 v14, 16, v1
.LBB57_49:
	v_mul_f32_e32 v2, s16, v13
	s_delay_alu instid0(VALU_DEP_1) | instskip(NEXT) | instid1(VALU_DEP_1)
	v_fmac_f32_e32 v2, s11, v12
	v_and_b32_e32 v1, 0x7f800000, v2
	s_delay_alu instid0(VALU_DEP_1) | instskip(SKIP_1) | instid1(SALU_CYCLE_1)
	v_cmp_ne_u32_e32 vcc_lo, 0x7f800000, v1
                                        ; implicit-def: $vgpr1
	s_and_saveexec_b32 s0, vcc_lo
	s_xor_b32 s0, exec_lo, s0
; %bb.50:
	v_bfe_u32 v1, v2, 16, 1
	s_delay_alu instid0(VALU_DEP_1)
	v_add3_u32 v1, v2, v1, 0x7fff
                                        ; implicit-def: $vgpr2
; %bb.51:
	s_and_not1_saveexec_b32 s0, s0
; %bb.52:
	v_and_b32_e32 v1, 0xffff, v2
	v_or_b32_e32 v3, 0x10000, v2
	s_delay_alu instid0(VALU_DEP_2) | instskip(NEXT) | instid1(VALU_DEP_2)
	v_cmp_eq_u32_e32 vcc_lo, 0, v1
	v_cndmask_b32_e32 v1, v3, v2, vcc_lo
; %bb.53:
	s_or_b32 exec_lo, exec_lo, s0
	s_load_b64 s[0:1], s[22:23], 0x4
	v_mul_f32_e32 v13, s16, v16
	v_bfe_u32 v4, v41, 10, 10
	v_bfe_u32 v3, v41, 20, 10
	v_lshrrev_b32_e32 v1, 16, v1
	s_delay_alu instid0(VALU_DEP_4) | instskip(NEXT) | instid1(VALU_DEP_1)
	v_fmac_f32_e32 v13, s11, v15
	v_and_b32_e32 v15, 0x7f800000, v13
	s_delay_alu instid0(VALU_DEP_1) | instskip(SKIP_2) | instid1(SALU_CYCLE_1)
	v_cmp_ne_u32_e32 vcc_lo, 0x7f800000, v15
                                        ; implicit-def: $vgpr15
	s_waitcnt lgkmcnt(0)
	s_lshr_b32 s0, s0, 16
	s_mul_i32 s0, s0, s1
	s_delay_alu instid0(SALU_CYCLE_1) | instskip(NEXT) | instid1(VALU_DEP_1)
	v_mul_lo_u32 v2, s0, v7
	v_mad_u32_u24 v12, v4, s1, v2
	s_delay_alu instid0(VALU_DEP_1) | instskip(SKIP_2) | instid1(SALU_CYCLE_1)
	v_add_lshl_u32 v12, v12, v3, 3
	ds_store_b16 v12, v1
	s_and_saveexec_b32 s0, vcc_lo
	s_xor_b32 s0, exec_lo, s0
; %bb.54:
	v_bfe_u32 v15, v13, 16, 1
	s_delay_alu instid0(VALU_DEP_1)
	v_add3_u32 v15, v13, v15, 0x7fff
                                        ; implicit-def: $vgpr13
; %bb.55:
	s_and_not1_saveexec_b32 s0, s0
; %bb.56:
	v_and_b32_e32 v15, 0xffff, v13
	v_or_b32_e32 v16, 0x10000, v13
	s_delay_alu instid0(VALU_DEP_2) | instskip(NEXT) | instid1(VALU_DEP_2)
	v_cmp_eq_u32_e32 vcc_lo, 0, v15
	v_cndmask_b32_e32 v15, v16, v13, vcc_lo
; %bb.57:
	s_or_b32 exec_lo, exec_lo, s0
	v_mul_f32_e32 v13, s16, v17
	s_mov_b32 s0, exec_lo
	s_delay_alu instid0(VALU_DEP_1) | instskip(SKIP_1) | instid1(VALU_DEP_2)
	v_fmac_f32_e32 v13, s11, v6
	v_lshrrev_b32_e32 v6, 16, v15
                                        ; implicit-def: $vgpr15
	v_and_b32_e32 v16, 0x7f800000, v13
	ds_store_b16 v12, v6 offset:2
	v_cmpx_ne_u32_e32 0x7f800000, v16
	s_xor_b32 s0, exec_lo, s0
; %bb.58:
	v_bfe_u32 v15, v13, 16, 1
	s_delay_alu instid0(VALU_DEP_1)
	v_add3_u32 v15, v13, v15, 0x7fff
                                        ; implicit-def: $vgpr13
; %bb.59:
	s_and_not1_saveexec_b32 s0, s0
; %bb.60:
	v_and_b32_e32 v15, 0xffff, v13
	v_or_b32_e32 v16, 0x10000, v13
	s_delay_alu instid0(VALU_DEP_2) | instskip(NEXT) | instid1(VALU_DEP_2)
	v_cmp_eq_u32_e32 vcc_lo, 0, v15
	v_cndmask_b32_e32 v15, v16, v13, vcc_lo
; %bb.61:
	s_or_b32 exec_lo, exec_lo, s0
	v_mul_f32_e32 v13, s16, v14
	s_delay_alu instid0(VALU_DEP_1) | instskip(NEXT) | instid1(VALU_DEP_3)
	v_fmac_f32_e32 v13, s11, v5
	v_lshrrev_b32_e32 v5, 16, v15
	s_delay_alu instid0(VALU_DEP_2) | instskip(SKIP_3) | instid1(SALU_CYCLE_1)
	v_and_b32_e32 v14, 0x7f800000, v13
	ds_store_b16 v12, v5 offset:4
	v_cmp_ne_u32_e32 vcc_lo, 0x7f800000, v14
                                        ; implicit-def: $vgpr14
	s_and_saveexec_b32 s0, vcc_lo
	s_xor_b32 s0, exec_lo, s0
; %bb.62:
	v_bfe_u32 v14, v13, 16, 1
	s_delay_alu instid0(VALU_DEP_1)
	v_add3_u32 v14, v13, v14, 0x7fff
                                        ; implicit-def: $vgpr13
; %bb.63:
	s_and_not1_saveexec_b32 s0, s0
; %bb.64:
	v_and_b32_e32 v14, 0xffff, v13
	v_or_b32_e32 v15, 0x10000, v13
	s_delay_alu instid0(VALU_DEP_2) | instskip(NEXT) | instid1(VALU_DEP_2)
	v_cmp_eq_u32_e32 vcc_lo, 0, v14
	v_cndmask_b32_e32 v14, v15, v13, vcc_lo
; %bb.65:
	s_or_b32 exec_lo, exec_lo, s0
	v_mul_lo_u32 v13, v0, s8
	s_delay_alu instid0(VALU_DEP_2)
	v_lshrrev_b32_e32 v0, 16, v14
	s_mov_b32 s0, exec_lo
	ds_store_b16 v12, v0 offset:6
	v_cmpx_ge_u32_e64 s4, v11
	s_xor_b32 s0, exec_lo, s0
	s_cbranch_execz .LBB57_67
; %bb.66:
	v_dual_mov_b32 v3, 0 :: v_dual_add_nc_u32 v2, s26, v10
                                        ; implicit-def: $vgpr4
	s_delay_alu instid0(VALU_DEP_1) | instskip(NEXT) | instid1(VALU_DEP_1)
	v_sub_nc_u32_e32 v2, v2, v9
	v_add_nc_u32_e32 v2, v2, v13
	s_delay_alu instid0(VALU_DEP_3) | instskip(SKIP_1) | instid1(VALU_DEP_3)
	v_mov_b32_e32 v8, v3
	v_mov_b32_e32 v10, v3
                                        ; implicit-def: $vgpr13
	v_add_nc_u32_e32 v9, 2, v2
	v_add_nc_u32_e32 v7, 1, v2
	v_lshlrev_b64 v[11:12], 1, v[2:3]
	v_add_nc_u32_e32 v2, 3, v2
	s_delay_alu instid0(VALU_DEP_4) | instskip(NEXT) | instid1(VALU_DEP_4)
	v_lshlrev_b64 v[9:10], 1, v[9:10]
	v_lshlrev_b64 v[7:8], 1, v[7:8]
	s_delay_alu instid0(VALU_DEP_4) | instskip(SKIP_2) | instid1(VALU_DEP_4)
	v_add_co_u32 v11, vcc_lo, s12, v11
	v_add_co_ci_u32_e32 v12, vcc_lo, s13, v12, vcc_lo
	v_lshlrev_b64 v[2:3], 1, v[2:3]
	v_add_co_u32 v7, vcc_lo, s12, v7
	v_add_co_ci_u32_e32 v8, vcc_lo, s13, v8, vcc_lo
	v_add_co_u32 v9, vcc_lo, s12, v9
	v_add_co_ci_u32_e32 v10, vcc_lo, s13, v10, vcc_lo
	;; [unrolled: 2-line block ×3, first 2 shown]
	s_clause 0x3
	global_store_b16 v[11:12], v1, off
	global_store_b16 v[7:8], v6, off
	;; [unrolled: 1-line block ×4, first 2 shown]
                                        ; implicit-def: $vgpr9
                                        ; implicit-def: $vgpr8
                                        ; implicit-def: $vgpr3
                                        ; implicit-def: $vgpr2
                                        ; implicit-def: $vgpr7
.LBB57_67:
	s_and_not1_saveexec_b32 s0, s0
	s_cbranch_execz .LBB57_71
; %bb.68:
	v_cmp_gt_u32_e32 vcc_lo, 4, v9
	s_and_b32 exec_lo, exec_lo, vcc_lo
	s_cbranch_execz .LBB57_71
; %bb.69:
	v_mul_u32_u24_e32 v0, s1, v4
	v_lshl_or_b32 v1, s21, 6, v8
	s_lshl_b32 s0, s5, 6
	v_and_b32_e32 v4, 15, v7
	s_lshl_b32 s1, s5, 7
	v_add3_u32 v0, v0, v3, v2
	v_subrev_nc_u32_e32 v2, s0, v1
	v_add3_u32 v1, s26, v13, v1
	s_delay_alu instid0(VALU_DEP_3) | instskip(NEXT) | instid1(VALU_DEP_3)
	v_add_lshl_u32 v0, v0, v4, 3
	v_add_nc_u32_e32 v3, 4, v2
	s_delay_alu instid0(VALU_DEP_2) | instskip(NEXT) | instid1(VALU_DEP_2)
	v_lshl_add_u32 v0, s21, 7, v0
	v_min_u32_e32 v3, s4, v3
	s_delay_alu instid0(VALU_DEP_2) | instskip(NEXT) | instid1(VALU_DEP_2)
	v_subrev_nc_u32_e32 v0, s1, v0
	v_lshlrev_b32_e32 v4, 1, v3
	v_sub_nc_u32_e32 v2, v2, v3
	s_mov_b32 s1, 0
	s_delay_alu instid0(VALU_DEP_2) | instskip(SKIP_1) | instid1(VALU_DEP_3)
	v_sub_nc_u32_e32 v3, v0, v4
	v_subrev_nc_u32_e32 v0, s0, v1
	v_dual_mov_b32 v1, 0 :: v_dual_add_nc_u32 v2, 3, v2
	s_delay_alu instid0(VALU_DEP_3)
	v_add_nc_u32_e32 v3, 8, v3
	.p2align	6
.LBB57_70:                              ; =>This Inner Loop Header: Depth=1
	ds_load_u16 v6, v3
	v_lshlrev_b64 v[4:5], 1, v[0:1]
	v_add_nc_u32_e32 v2, 1, v2
	v_add_nc_u32_e32 v0, 1, v0
	v_add_nc_u32_e32 v3, 2, v3
	s_delay_alu instid0(VALU_DEP_3) | instskip(SKIP_1) | instid1(VALU_DEP_1)
	v_cmp_lt_u32_e32 vcc_lo, 2, v2
	v_add_co_u32 v4, s0, s12, v4
	v_add_co_ci_u32_e64 v5, s0, s13, v5, s0
	s_or_b32 s1, vcc_lo, s1
	s_waitcnt lgkmcnt(0)
	global_store_b16 v[4:5], v6, off
	s_and_not1_b32 exec_lo, exec_lo, s1
	s_cbranch_execnz .LBB57_70
.LBB57_71:
	s_endpgm
	.section	.rodata,"a",@progbits
	.p2align	6, 0x0
	.amdhsa_kernel Transform_BF16_S_100_16_16_VW_4
		.amdhsa_group_segment_fixed_size 8192
		.amdhsa_private_segment_fixed_size 64
		.amdhsa_kernarg_size 344
		.amdhsa_user_sgpr_count 14
		.amdhsa_user_sgpr_dispatch_ptr 1
		.amdhsa_user_sgpr_queue_ptr 0
		.amdhsa_user_sgpr_kernarg_segment_ptr 1
		.amdhsa_user_sgpr_dispatch_id 0
		.amdhsa_user_sgpr_private_segment_size 0
		.amdhsa_wavefront_size32 1
		.amdhsa_uses_dynamic_stack 0
		.amdhsa_enable_private_segment 1
		.amdhsa_system_sgpr_workgroup_id_x 1
		.amdhsa_system_sgpr_workgroup_id_y 0
		.amdhsa_system_sgpr_workgroup_id_z 1
		.amdhsa_system_sgpr_workgroup_info 0
		.amdhsa_system_vgpr_workitem_id 2
		.amdhsa_next_free_vgpr 42
		.amdhsa_next_free_sgpr 34
		.amdhsa_reserve_vcc 1
		.amdhsa_float_round_mode_32 0
		.amdhsa_float_round_mode_16_64 0
		.amdhsa_float_denorm_mode_32 3
		.amdhsa_float_denorm_mode_16_64 3
		.amdhsa_dx10_clamp 1
		.amdhsa_ieee_mode 1
		.amdhsa_fp16_overflow 0
		.amdhsa_workgroup_processor_mode 1
		.amdhsa_memory_ordered 1
		.amdhsa_forward_progress 0
		.amdhsa_shared_vgpr_count 0
		.amdhsa_exception_fp_ieee_invalid_op 0
		.amdhsa_exception_fp_denorm_src 0
		.amdhsa_exception_fp_ieee_div_zero 0
		.amdhsa_exception_fp_ieee_overflow 0
		.amdhsa_exception_fp_ieee_underflow 0
		.amdhsa_exception_fp_ieee_inexact 0
		.amdhsa_exception_int_div_zero 0
	.end_amdhsa_kernel
	.text
.Lfunc_end57:
	.size	Transform_BF16_S_100_16_16_VW_4, .Lfunc_end57-Transform_BF16_S_100_16_16_VW_4
                                        ; -- End function
	.section	.AMDGPU.csdata,"",@progbits
; Kernel info:
; codeLenInByte = 2316
; NumSgprs: 36
; NumVgprs: 42
; ScratchSize: 64
; MemoryBound: 0
; FloatMode: 240
; IeeeMode: 1
; LDSByteSize: 8192 bytes/workgroup (compile time only)
; SGPRBlocks: 4
; VGPRBlocks: 5
; NumSGPRsForWavesPerEU: 36
; NumVGPRsForWavesPerEU: 42
; Occupancy: 16
; WaveLimiterHint : 1
; COMPUTE_PGM_RSRC2:SCRATCH_EN: 1
; COMPUTE_PGM_RSRC2:USER_SGPR: 14
; COMPUTE_PGM_RSRC2:TRAP_HANDLER: 0
; COMPUTE_PGM_RSRC2:TGID_X_EN: 1
; COMPUTE_PGM_RSRC2:TGID_Y_EN: 0
; COMPUTE_PGM_RSRC2:TGID_Z_EN: 1
; COMPUTE_PGM_RSRC2:TIDIG_COMP_CNT: 2
	.text
	.protected	Transform_BF16_S_011_16_16_VW_1 ; -- Begin function Transform_BF16_S_011_16_16_VW_1
	.globl	Transform_BF16_S_011_16_16_VW_1
	.p2align	8
	.type	Transform_BF16_S_011_16_16_VW_1,@function
Transform_BF16_S_011_16_16_VW_1:        ; @Transform_BF16_S_011_16_16_VW_1
; %bb.0:
	s_mov_b64 s[22:23], s[0:1]
	s_load_b32 s0, s[0:1], 0x64
	v_mov_b32_e32 v41, v0
	s_mov_b32 s21, s15
	s_mov_b32 s24, s14
	;; [unrolled: 1-line block ×3, first 2 shown]
	s_waitcnt lgkmcnt(0)
	v_cmp_eq_u16_e64 s0, 0x100, s0
	s_delay_alu instid0(VALU_DEP_1)
	s_and_b32 vcc_lo, exec_lo, s0
	s_mov_b32 s0, -1
	s_cbranch_vccnz .LBB58_2
; %bb.1:
	s_add_u32 s8, s22, 0x58
	s_addc_u32 s9, s23, 0
	s_getpc_b64 s[0:1]
	s_add_u32 s0, s0, __PRETTY_FUNCTION__._ZN10amd_detail9transformI12hip_bfloat16fLb0ELb1ELb1ELj16ELj16ELj1EEEvPT_PKS2_S5_T0_PKS6_S6_S8_jjjjjjbb@rel32@lo+4
	s_addc_u32 s1, s1, __PRETTY_FUNCTION__._ZN10amd_detail9transformI12hip_bfloat16fLb0ELb1ELb1ELj16ELj16ELj1EEEvPT_PKS2_S5_T0_PKS6_S6_S8_jjjjjjbb@rel32@hi+12
	s_delay_alu instid0(SALU_CYCLE_1) | instskip(SKIP_3) | instid1(SALU_CYCLE_1)
	v_dual_mov_b32 v0, s0 :: v_dual_mov_b32 v1, s1
	s_getpc_b64 s[2:3]
	s_add_u32 s2, s2, __assert_fail@rel32@lo+4
	s_addc_u32 s3, s3, __assert_fail@rel32@hi+12
	s_swappc_b64 s[30:31], s[2:3]
	; divergent unreachable
	s_mov_b32 s0, 0
.LBB58_2:
	s_delay_alu instid0(SALU_CYCLE_1)
	s_and_not1_b32 vcc_lo, exec_lo, s0
	s_cbranch_vccnz .LBB58_18
; %bb.3:
	s_load_b256 s[0:7], s[22:23], 0x38
	s_waitcnt lgkmcnt(0)
	s_and_b32 s7, s0, 15
	s_lshr_b32 s8, s0, 4
	s_cmp_lg_u32 s7, 0
	s_cselect_b32 s7, -1, 0
	s_delay_alu instid0(SALU_CYCLE_1) | instskip(SKIP_4) | instid1(VALU_DEP_1)
	s_cmp_lg_u32 s7, 0
	s_addc_u32 s10, s8, 0
	s_load_b64 s[8:9], s[22:23], 0x20
	v_cvt_f32_u32_e32 v0, s10
	s_sub_i32 s11, 0, s10
	v_rcp_iflag_f32_e32 v0, v0
	s_waitcnt_depctr 0xfff
	v_mul_f32_e32 v0, 0x4f7ffffe, v0
	s_delay_alu instid0(VALU_DEP_1) | instskip(NEXT) | instid1(VALU_DEP_1)
	v_cvt_u32_f32_e32 v0, v0
	v_readfirstlane_b32 s7, v0
	s_delay_alu instid0(VALU_DEP_1) | instskip(NEXT) | instid1(SALU_CYCLE_1)
	s_mul_i32 s11, s11, s7
	s_mul_hi_u32 s11, s7, s11
	s_delay_alu instid0(SALU_CYCLE_1)
	s_add_i32 s7, s7, s11
	s_waitcnt lgkmcnt(0)
	s_cmp_eq_u64 s[8:9], 0
	s_mul_hi_u32 s11, s24, s7
	s_cbranch_scc1 .LBB58_6
; %bb.4:
	s_load_b32 s7, s[8:9], 0x0
	s_load_b64 s[8:9], s[22:23], 0x30
	s_waitcnt lgkmcnt(0)
	s_cmp_eq_u64 s[8:9], 0
	s_cbranch_scc1 .LBB58_7
.LBB58_5:
	s_load_b32 s12, s[8:9], 0x0
	s_branch .LBB58_8
.LBB58_6:
	s_clause 0x1
	s_load_b32 s7, s[22:23], 0x18
	s_load_b64 s[8:9], s[22:23], 0x30
	s_waitcnt lgkmcnt(0)
	s_cmp_eq_u64 s[8:9], 0
	s_cbranch_scc0 .LBB58_5
.LBB58_7:
	s_load_b32 s12, s[22:23], 0x28
.LBB58_8:
	s_mul_i32 s8, s11, s10
	s_add_i32 s9, s11, 1
	s_sub_i32 s8, s24, s8
	v_and_b32_e32 v0, 15, v41
	s_sub_i32 s13, s8, s10
	s_cmp_ge_u32 s8, s10
	v_lshrrev_b32_e32 v2, 4, v41
	s_cselect_b32 s9, s9, s11
	s_cselect_b32 s8, s13, s8
	s_add_i32 s11, s9, 1
	s_cmp_ge_u32 s8, s10
	s_cselect_b32 s8, s11, s9
	s_delay_alu instid0(SALU_CYCLE_1) | instskip(NEXT) | instid1(SALU_CYCLE_1)
	s_mul_i32 s9, s8, s10
	s_sub_i32 s9, s24, s9
	s_delay_alu instid0(SALU_CYCLE_1) | instskip(SKIP_1) | instid1(VALU_DEP_2)
	v_lshl_or_b32 v1, s9, 4, v0
	v_lshl_add_u32 v0, s8, 4, v2
	v_cmp_gt_u32_e32 vcc_lo, s0, v1
	s_delay_alu instid0(VALU_DEP_2) | instskip(NEXT) | instid1(VALU_DEP_1)
	v_cmp_gt_u32_e64 s0, s1, v0
	s_and_b32 s0, vcc_lo, s0
	s_delay_alu instid0(SALU_CYCLE_1)
	s_and_saveexec_b32 s1, s0
	s_cbranch_execz .LBB58_18
; %bb.9:
	s_clause 0x1
	s_load_b128 s[8:11], s[22:23], 0x0
	s_load_b64 s[0:1], s[22:23], 0x10
	v_dual_mov_b32 v3, 0 :: v_dual_mov_b32 v2, 0
	s_mul_i32 s21, s21, s5
	s_waitcnt lgkmcnt(0)
	s_cmp_eq_u64 s[10:11], 0
	s_cbranch_scc1 .LBB58_11
; %bb.10:
	s_bitcmp1_b32 s6, 0
	v_mov_b32_e32 v5, 0
	s_cselect_b32 vcc_lo, -1, 0
	v_cndmask_b32_e32 v2, v0, v1, vcc_lo
	v_cndmask_b32_e32 v4, v1, v0, vcc_lo
	s_delay_alu instid0(VALU_DEP_2) | instskip(NEXT) | instid1(VALU_DEP_1)
	v_mul_lo_u32 v2, v2, s2
	v_add3_u32 v4, v4, s21, v2
	s_delay_alu instid0(VALU_DEP_1) | instskip(NEXT) | instid1(VALU_DEP_1)
	v_lshlrev_b64 v[4:5], 1, v[4:5]
	v_add_co_u32 v4, vcc_lo, s10, v4
	s_delay_alu instid0(VALU_DEP_2)
	v_add_co_ci_u32_e32 v5, vcc_lo, s11, v5, vcc_lo
	global_load_u16 v2, v[4:5], off
	s_waitcnt vmcnt(0)
	v_lshlrev_b32_e32 v2, 16, v2
.LBB58_11:
	s_cmp_eq_u64 s[0:1], 0
	s_cbranch_scc1 .LBB58_13
; %bb.12:
	s_load_b32 s2, s[22:23], 0x50
	v_mov_b32_e32 v4, 0
	s_waitcnt lgkmcnt(0)
	s_bitcmp1_b32 s2, 8
	s_cselect_b32 vcc_lo, -1, 0
	v_cndmask_b32_e32 v3, v1, v0, vcc_lo
	v_cndmask_b32_e32 v5, v0, v1, vcc_lo
	s_delay_alu instid0(VALU_DEP_2) | instskip(NEXT) | instid1(VALU_DEP_1)
	v_mul_lo_u32 v3, v3, s3
	v_add3_u32 v3, v5, s21, v3
	s_delay_alu instid0(VALU_DEP_1) | instskip(NEXT) | instid1(VALU_DEP_1)
	v_lshlrev_b64 v[3:4], 1, v[3:4]
	v_add_co_u32 v3, vcc_lo, s0, v3
	s_delay_alu instid0(VALU_DEP_2)
	v_add_co_ci_u32_e32 v4, vcc_lo, s1, v4, vcc_lo
	global_load_u16 v3, v[3:4], off
	s_waitcnt vmcnt(0)
	v_lshlrev_b32_e32 v3, 16, v3
.LBB58_13:
	s_delay_alu instid0(VALU_DEP_1) | instskip(NEXT) | instid1(VALU_DEP_1)
	v_mul_f32_e32 v3, s12, v3
	v_fmac_f32_e32 v3, s7, v2
	s_delay_alu instid0(VALU_DEP_1) | instskip(NEXT) | instid1(VALU_DEP_1)
	v_and_b32_e32 v2, 0x7f800000, v3
	v_cmp_ne_u32_e32 vcc_lo, 0x7f800000, v2
                                        ; implicit-def: $vgpr2
	s_and_saveexec_b32 s0, vcc_lo
	s_delay_alu instid0(SALU_CYCLE_1)
	s_xor_b32 s0, exec_lo, s0
; %bb.14:
	v_bfe_u32 v2, v3, 16, 1
	s_delay_alu instid0(VALU_DEP_1)
	v_add3_u32 v2, v3, v2, 0x7fff
                                        ; implicit-def: $vgpr3
; %bb.15:
	s_and_not1_saveexec_b32 s0, s0
; %bb.16:
	v_and_b32_e32 v2, 0xffff, v3
	v_or_b32_e32 v4, 0x10000, v3
	s_delay_alu instid0(VALU_DEP_2) | instskip(NEXT) | instid1(VALU_DEP_2)
	v_cmp_eq_u32_e32 vcc_lo, 0, v2
	v_cndmask_b32_e32 v2, v4, v3, vcc_lo
; %bb.17:
	s_or_b32 exec_lo, exec_lo, s0
	v_mul_lo_u32 v3, v1, s4
	v_mov_b32_e32 v1, 0
	s_delay_alu instid0(VALU_DEP_2) | instskip(NEXT) | instid1(VALU_DEP_1)
	v_add3_u32 v0, v0, s21, v3
	v_lshlrev_b64 v[0:1], 1, v[0:1]
	s_delay_alu instid0(VALU_DEP_1) | instskip(NEXT) | instid1(VALU_DEP_2)
	v_add_co_u32 v0, vcc_lo, s8, v0
	v_add_co_ci_u32_e32 v1, vcc_lo, s9, v1, vcc_lo
	global_store_d16_hi_b16 v[0:1], v2, off
.LBB58_18:
	s_endpgm
	.section	.rodata,"a",@progbits
	.p2align	6, 0x0
	.amdhsa_kernel Transform_BF16_S_011_16_16_VW_1
		.amdhsa_group_segment_fixed_size 0
		.amdhsa_private_segment_fixed_size 64
		.amdhsa_kernarg_size 344
		.amdhsa_user_sgpr_count 14
		.amdhsa_user_sgpr_dispatch_ptr 0
		.amdhsa_user_sgpr_queue_ptr 0
		.amdhsa_user_sgpr_kernarg_segment_ptr 1
		.amdhsa_user_sgpr_dispatch_id 0
		.amdhsa_user_sgpr_private_segment_size 0
		.amdhsa_wavefront_size32 1
		.amdhsa_uses_dynamic_stack 0
		.amdhsa_enable_private_segment 1
		.amdhsa_system_sgpr_workgroup_id_x 1
		.amdhsa_system_sgpr_workgroup_id_y 0
		.amdhsa_system_sgpr_workgroup_id_z 1
		.amdhsa_system_sgpr_workgroup_info 0
		.amdhsa_system_vgpr_workitem_id 0
		.amdhsa_next_free_vgpr 42
		.amdhsa_next_free_sgpr 34
		.amdhsa_reserve_vcc 1
		.amdhsa_float_round_mode_32 0
		.amdhsa_float_round_mode_16_64 0
		.amdhsa_float_denorm_mode_32 3
		.amdhsa_float_denorm_mode_16_64 3
		.amdhsa_dx10_clamp 1
		.amdhsa_ieee_mode 1
		.amdhsa_fp16_overflow 0
		.amdhsa_workgroup_processor_mode 1
		.amdhsa_memory_ordered 1
		.amdhsa_forward_progress 0
		.amdhsa_shared_vgpr_count 0
		.amdhsa_exception_fp_ieee_invalid_op 0
		.amdhsa_exception_fp_denorm_src 0
		.amdhsa_exception_fp_ieee_div_zero 0
		.amdhsa_exception_fp_ieee_overflow 0
		.amdhsa_exception_fp_ieee_underflow 0
		.amdhsa_exception_fp_ieee_inexact 0
		.amdhsa_exception_int_div_zero 0
	.end_amdhsa_kernel
	.text
.Lfunc_end58:
	.size	Transform_BF16_S_011_16_16_VW_1, .Lfunc_end58-Transform_BF16_S_011_16_16_VW_1
                                        ; -- End function
	.section	.AMDGPU.csdata,"",@progbits
; Kernel info:
; codeLenInByte = 852
; NumSgprs: 36
; NumVgprs: 42
; ScratchSize: 64
; MemoryBound: 0
; FloatMode: 240
; IeeeMode: 1
; LDSByteSize: 0 bytes/workgroup (compile time only)
; SGPRBlocks: 4
; VGPRBlocks: 5
; NumSGPRsForWavesPerEU: 36
; NumVGPRsForWavesPerEU: 42
; Occupancy: 16
; WaveLimiterHint : 1
; COMPUTE_PGM_RSRC2:SCRATCH_EN: 1
; COMPUTE_PGM_RSRC2:USER_SGPR: 14
; COMPUTE_PGM_RSRC2:TRAP_HANDLER: 0
; COMPUTE_PGM_RSRC2:TGID_X_EN: 1
; COMPUTE_PGM_RSRC2:TGID_Y_EN: 0
; COMPUTE_PGM_RSRC2:TGID_Z_EN: 1
; COMPUTE_PGM_RSRC2:TIDIG_COMP_CNT: 0
	.text
	.protected	Transform_BF16_S_011_16_16_VW_4 ; -- Begin function Transform_BF16_S_011_16_16_VW_4
	.globl	Transform_BF16_S_011_16_16_VW_4
	.p2align	8
	.type	Transform_BF16_S_011_16_16_VW_4,@function
Transform_BF16_S_011_16_16_VW_4:        ; @Transform_BF16_S_011_16_16_VW_4
; %bb.0:
	s_mov_b64 s[22:23], s[0:1]
	s_load_b32 s0, s[2:3], 0x64
	v_mov_b32_e32 v41, v0
	s_mov_b32 s26, s15
	s_mov_b64 s[24:25], s[2:3]
	s_mov_b32 s21, s14
	s_mov_b32 s32, 0
	s_waitcnt lgkmcnt(0)
	v_cmp_eq_u16_e64 s0, 0x100, s0
	s_delay_alu instid0(VALU_DEP_1)
	s_and_b32 vcc_lo, exec_lo, s0
	s_mov_b32 s0, -1
	s_cbranch_vccnz .LBB59_2
; %bb.1:
	s_add_u32 s8, s24, 0x58
	s_addc_u32 s9, s25, 0
	s_getpc_b64 s[0:1]
	s_add_u32 s0, s0, __PRETTY_FUNCTION__._ZN10amd_detail9transformI12hip_bfloat16fLb0ELb1ELb1ELj16ELj16ELj4EEEvPT_PKS2_S5_T0_PKS6_S6_S8_jjjjjjbb@rel32@lo+4
	s_addc_u32 s1, s1, __PRETTY_FUNCTION__._ZN10amd_detail9transformI12hip_bfloat16fLb0ELb1ELb1ELj16ELj16ELj4EEEvPT_PKS2_S5_T0_PKS6_S6_S8_jjjjjjbb@rel32@hi+12
	s_delay_alu instid0(SALU_CYCLE_1) | instskip(SKIP_3) | instid1(SALU_CYCLE_1)
	v_dual_mov_b32 v0, s0 :: v_dual_mov_b32 v1, s1
	s_getpc_b64 s[2:3]
	s_add_u32 s2, s2, __assert_fail@rel32@lo+4
	s_addc_u32 s3, s3, __assert_fail@rel32@hi+12
	s_swappc_b64 s[30:31], s[2:3]
	; divergent unreachable
	s_mov_b32 s0, 0
.LBB59_2:
	s_delay_alu instid0(SALU_CYCLE_1)
	s_and_not1_b32 vcc_lo, exec_lo, s0
	s_cbranch_vccnz .LBB59_71
; %bb.3:
	s_load_b128 s[0:3], s[24:25], 0x38
	s_waitcnt lgkmcnt(0)
	s_and_b32 s4, s0, 15
	s_lshr_b32 s5, s0, 4
	s_cmp_lg_u32 s4, 0
	s_cselect_b32 s4, -1, 0
	s_delay_alu instid0(SALU_CYCLE_1) | instskip(SKIP_4) | instid1(VALU_DEP_1)
	s_cmp_lg_u32 s4, 0
	s_addc_u32 s6, s5, 0
	s_load_b64 s[4:5], s[24:25], 0x20
	v_cvt_f32_u32_e32 v0, s6
	s_sub_i32 s8, 0, s6
	v_rcp_iflag_f32_e32 v0, v0
	s_waitcnt_depctr 0xfff
	v_mul_f32_e32 v0, 0x4f7ffffe, v0
	s_delay_alu instid0(VALU_DEP_1) | instskip(NEXT) | instid1(VALU_DEP_1)
	v_cvt_u32_f32_e32 v0, v0
	v_readfirstlane_b32 s7, v0
	s_delay_alu instid0(VALU_DEP_1) | instskip(NEXT) | instid1(SALU_CYCLE_1)
	s_mul_i32 s8, s8, s7
	s_mul_hi_u32 s8, s7, s8
	s_delay_alu instid0(SALU_CYCLE_1)
	s_add_i32 s7, s7, s8
	s_waitcnt lgkmcnt(0)
	s_cmp_eq_u64 s[4:5], 0
	s_mul_hi_u32 s7, s21, s7
	s_cbranch_scc1 .LBB59_6
; %bb.4:
	s_load_b32 s16, s[4:5], 0x0
	s_load_b64 s[4:5], s[24:25], 0x30
	s_waitcnt lgkmcnt(0)
	s_cmp_eq_u64 s[4:5], 0
	s_cbranch_scc1 .LBB59_7
.LBB59_5:
	s_load_b32 s17, s[4:5], 0x0
	s_branch .LBB59_8
.LBB59_6:
	s_clause 0x1
	s_load_b32 s16, s[24:25], 0x18
	s_load_b64 s[4:5], s[24:25], 0x30
	s_waitcnt lgkmcnt(0)
	s_cmp_eq_u64 s[4:5], 0
	s_cbranch_scc0 .LBB59_5
.LBB59_7:
	s_load_b32 s17, s[24:25], 0x28
.LBB59_8:
	s_mul_i32 s4, s7, s6
	s_add_i32 s5, s7, 1
	s_sub_i32 s4, s21, s4
	v_and_b32_e32 v4, 0x3ff, v41
	s_sub_i32 s8, s4, s6
	s_cmp_ge_u32 s4, s6
	s_cselect_b32 s5, s5, s7
	s_cselect_b32 s4, s8, s4
	s_add_i32 s7, s5, 1
	s_cmp_ge_u32 s4, s6
	v_and_b32_e32 v5, 15, v4
	s_cselect_b32 s14, s7, s5
	s_delay_alu instid0(SALU_CYCLE_1) | instskip(NEXT) | instid1(SALU_CYCLE_1)
	s_mul_i32 s15, s14, s6
	s_sub_i32 s4, s21, s15
	s_delay_alu instid0(VALU_DEP_1) | instid1(SALU_CYCLE_1)
	v_lshl_or_b32 v1, s4, 4, v5
	s_delay_alu instid0(VALU_DEP_1)
	v_cmp_gt_u32_e32 vcc_lo, s0, v1
	s_and_saveexec_b32 s0, vcc_lo
	s_cbranch_execz .LBB59_71
; %bb.9:
	v_lshrrev_b32_e32 v0, 2, v4
	s_clause 0x1
	s_load_b128 s[8:11], s[24:25], 0x48
	s_load_b128 s[4:7], s[24:25], 0x0
	s_waitcnt lgkmcnt(0)
	s_lshl_b32 s11, s14, 6
	s_load_b64 s[12:13], s[24:25], 0x10
	v_dual_mov_b32 v9, 0 :: v_dual_and_b32 v6, 0xfc, v0
	v_mov_b32_e32 v10, 0
	s_delay_alu instid0(VALU_DEP_2) | instskip(NEXT) | instid1(VALU_DEP_1)
	v_add_nc_u32_e32 v0, s11, v6
	v_add_nc_u32_e32 v7, 4, v0
	v_mad_u64_u32 v[2:3], null, v1, s2, v[0:1]
	s_bitcmp1_b32 s10, 0
	s_delay_alu instid0(VALU_DEP_2)
	v_sub_nc_u32_e64 v8, v7, s1 clamp
	s_cselect_b32 vcc_lo, -1, 0
	s_cmp_lg_u64 s[6:7], 0
	s_mul_i32 s26, s26, s9
	s_cselect_b32 s10, -1, 0
	v_sub_nc_u32_e32 v15, v0, v8
	v_sub_nc_u32_e32 v11, v2, v8
	s_cmp_eq_u64 s[6:7], 0
	s_cbranch_scc1 .LBB59_11
; %bb.10:
	s_delay_alu instid0(VALU_DEP_2) | instskip(NEXT) | instid1(VALU_DEP_1)
	v_mad_u64_u32 v[2:3], null, v15, s2, v[1:2]
	v_dual_mov_b32 v3, 0 :: v_dual_cndmask_b32 v2, v2, v11
	s_delay_alu instid0(VALU_DEP_1) | instskip(NEXT) | instid1(VALU_DEP_1)
	v_add_nc_u32_e32 v2, s26, v2
	v_lshlrev_b64 v[2:3], 1, v[2:3]
	s_delay_alu instid0(VALU_DEP_1) | instskip(NEXT) | instid1(VALU_DEP_1)
	v_add_co_u32 v2, s0, s6, v2
	v_add_co_ci_u32_e64 v3, s0, s7, v3, s0
	global_load_u16 v2, v[2:3], off
	s_waitcnt vmcnt(0)
	v_lshlrev_b32_e32 v10, 16, v2
.LBB59_11:
	s_load_b32 s0, s[24:25], 0x50
	v_mad_u64_u32 v[2:3], null, v1, s3, v[0:1]
	v_mul_lo_u32 v12, v15, s3
	s_xor_b32 s18, vcc_lo, -1
	s_delay_alu instid0(VALU_DEP_2)
	v_sub_nc_u32_e32 v16, v2, v8
	s_waitcnt lgkmcnt(0)
	s_bitcmp1_b32 s0, 8
	s_cselect_b32 s0, -1, 0
	s_cmp_lg_u64 s[12:13], 0
	s_cselect_b32 s9, -1, 0
	s_cmp_eq_u64 s[12:13], 0
	s_cbranch_scc1 .LBB59_13
; %bb.12:
	v_dual_mov_b32 v3, 0 :: v_dual_add_nc_u32 v2, v12, v1
	s_delay_alu instid0(VALU_DEP_1) | instskip(NEXT) | instid1(VALU_DEP_1)
	v_cndmask_b32_e64 v2, v16, v2, s0
	v_add_nc_u32_e32 v2, s26, v2
	s_delay_alu instid0(VALU_DEP_1) | instskip(NEXT) | instid1(VALU_DEP_1)
	v_lshlrev_b64 v[2:3], 1, v[2:3]
	v_add_co_u32 v2, vcc_lo, s12, v2
	s_delay_alu instid0(VALU_DEP_2)
	v_add_co_ci_u32_e32 v3, vcc_lo, s13, v3, vcc_lo
	global_load_u16 v2, v[2:3], off
	s_waitcnt vmcnt(0)
	v_lshlrev_b32_e32 v9, 16, v2
.LBB59_13:
	v_cndmask_b32_e64 v19, 0, 1, s18
	s_and_not1_b32 vcc_lo, exec_lo, s18
	s_cbranch_vccnz .LBB59_15
; %bb.14:
	v_mul_lo_u32 v2, s2, v15
	s_delay_alu instid0(VALU_DEP_1)
	v_add3_u32 v2, v2, s2, v1
	s_xor_b32 s0, s0, -1
	s_cbranch_execz .LBB59_16
	s_branch .LBB59_17
.LBB59_15:
                                        ; implicit-def: $vgpr2
	s_xor_b32 s0, s0, -1
.LBB59_16:
	v_add_nc_u32_e32 v2, 1, v11
.LBB59_17:
	v_cndmask_b32_e64 v20, 0, 1, s0
	s_and_not1_b32 vcc_lo, exec_lo, s0
	s_cbranch_vccnz .LBB59_19
; %bb.18:
	v_add_nc_u32_e32 v3, 1, v16
	s_cbranch_execz .LBB59_20
	s_branch .LBB59_21
.LBB59_19:
                                        ; implicit-def: $vgpr3
.LBB59_20:
	v_add3_u32 v3, v12, s3, v1
.LBB59_21:
	v_cndmask_b32_e64 v21, 0, 1, s10
	v_dual_mov_b32 v14, 0 :: v_dual_mov_b32 v13, 0
	s_and_not1_b32 vcc_lo, exec_lo, s10
	s_cbranch_vccnz .LBB59_23
; %bb.22:
	v_dual_mov_b32 v18, 0 :: v_dual_add_nc_u32 v17, s26, v2
	s_delay_alu instid0(VALU_DEP_1) | instskip(NEXT) | instid1(VALU_DEP_1)
	v_lshlrev_b64 v[17:18], 1, v[17:18]
	v_add_co_u32 v17, vcc_lo, s6, v17
	s_delay_alu instid0(VALU_DEP_2)
	v_add_co_ci_u32_e32 v18, vcc_lo, s7, v18, vcc_lo
	global_load_u16 v2, v[17:18], off
	s_waitcnt vmcnt(0)
	v_lshlrev_b32_e32 v13, 16, v2
.LBB59_23:
	v_cndmask_b32_e64 v22, 0, 1, s9
	s_and_not1_b32 vcc_lo, exec_lo, s9
	s_cbranch_vccnz .LBB59_25
; %bb.24:
	v_dual_mov_b32 v3, 0 :: v_dual_add_nc_u32 v2, s26, v3
	s_delay_alu instid0(VALU_DEP_1) | instskip(NEXT) | instid1(VALU_DEP_1)
	v_lshlrev_b64 v[2:3], 1, v[2:3]
	v_add_co_u32 v2, vcc_lo, s12, v2
	s_delay_alu instid0(VALU_DEP_2)
	v_add_co_ci_u32_e32 v3, vcc_lo, s13, v3, vcc_lo
	global_load_u16 v2, v[2:3], off
	s_waitcnt vmcnt(0)
	v_lshlrev_b32_e32 v14, 16, v2
.LBB59_25:
	v_cmp_ne_u32_e32 vcc_lo, 1, v19
	s_cbranch_vccnz .LBB59_27
; %bb.26:
	v_add_nc_u32_e32 v17, 2, v15
	s_delay_alu instid0(VALU_DEP_1)
	v_mad_u64_u32 v[2:3], null, v17, s2, v[1:2]
	s_cbranch_execz .LBB59_28
	s_branch .LBB59_29
.LBB59_27:
                                        ; implicit-def: $vgpr2
.LBB59_28:
	v_add_nc_u32_e32 v2, 2, v11
.LBB59_29:
	v_cmp_ne_u32_e32 vcc_lo, 1, v20
	s_cbranch_vccnz .LBB59_31
; %bb.30:
	v_add_nc_u32_e32 v3, 2, v16
	s_cbranch_execz .LBB59_32
	s_branch .LBB59_33
.LBB59_31:
                                        ; implicit-def: $vgpr3
.LBB59_32:
	s_lshl_b32 s0, s3, 1
	s_delay_alu instid0(SALU_CYCLE_1)
	v_add3_u32 v3, v12, s0, v1
.LBB59_33:
	v_cmp_ne_u32_e32 vcc_lo, 1, v21
	v_dual_mov_b32 v18, 0 :: v_dual_mov_b32 v17, 0
	s_cbranch_vccnz .LBB59_35
; %bb.34:
	v_dual_mov_b32 v24, 0 :: v_dual_add_nc_u32 v23, s26, v2
	s_delay_alu instid0(VALU_DEP_1) | instskip(NEXT) | instid1(VALU_DEP_1)
	v_lshlrev_b64 v[23:24], 1, v[23:24]
	v_add_co_u32 v23, vcc_lo, s6, v23
	s_delay_alu instid0(VALU_DEP_2)
	v_add_co_ci_u32_e32 v24, vcc_lo, s7, v24, vcc_lo
	global_load_u16 v2, v[23:24], off
	s_waitcnt vmcnt(0)
	v_lshlrev_b32_e32 v17, 16, v2
.LBB59_35:
	v_cmp_ne_u32_e32 vcc_lo, 1, v22
	s_cbranch_vccnz .LBB59_37
; %bb.36:
	v_dual_mov_b32 v3, 0 :: v_dual_add_nc_u32 v2, s26, v3
	s_delay_alu instid0(VALU_DEP_1) | instskip(NEXT) | instid1(VALU_DEP_1)
	v_lshlrev_b64 v[2:3], 1, v[2:3]
	v_add_co_u32 v2, vcc_lo, s12, v2
	s_delay_alu instid0(VALU_DEP_2)
	v_add_co_ci_u32_e32 v3, vcc_lo, s13, v3, vcc_lo
	global_load_u16 v2, v[2:3], off
	s_waitcnt vmcnt(0)
	v_lshlrev_b32_e32 v18, 16, v2
.LBB59_37:
	v_cmp_ne_u32_e32 vcc_lo, 1, v19
	s_cbranch_vccnz .LBB59_39
; %bb.38:
	v_add_nc_u32_e32 v15, 3, v15
	s_delay_alu instid0(VALU_DEP_1)
	v_mad_u64_u32 v[2:3], null, v15, s2, v[1:2]
	s_cbranch_execz .LBB59_40
	s_branch .LBB59_41
.LBB59_39:
                                        ; implicit-def: $vgpr2
.LBB59_40:
	v_add_nc_u32_e32 v2, 3, v11
.LBB59_41:
	v_cmp_ne_u32_e32 vcc_lo, 1, v20
	s_cbranch_vccnz .LBB59_43
; %bb.42:
	v_add_nc_u32_e32 v3, 3, v16
	s_cbranch_execz .LBB59_44
	s_branch .LBB59_45
.LBB59_43:
                                        ; implicit-def: $vgpr3
.LBB59_44:
	s_mul_i32 s0, s3, 3
	s_delay_alu instid0(SALU_CYCLE_1)
	v_add3_u32 v3, v12, s0, v1
.LBB59_45:
	v_cmp_ne_u32_e32 vcc_lo, 1, v21
	v_dual_mov_b32 v12, 0 :: v_dual_mov_b32 v11, 0
	s_cbranch_vccnz .LBB59_47
; %bb.46:
	v_dual_mov_b32 v16, 0 :: v_dual_add_nc_u32 v15, s26, v2
	s_delay_alu instid0(VALU_DEP_1) | instskip(NEXT) | instid1(VALU_DEP_1)
	v_lshlrev_b64 v[15:16], 1, v[15:16]
	v_add_co_u32 v15, vcc_lo, s6, v15
	s_delay_alu instid0(VALU_DEP_2)
	v_add_co_ci_u32_e32 v16, vcc_lo, s7, v16, vcc_lo
	global_load_u16 v2, v[15:16], off
	s_waitcnt vmcnt(0)
	v_lshlrev_b32_e32 v11, 16, v2
.LBB59_47:
	v_cmp_ne_u32_e32 vcc_lo, 1, v22
	s_cbranch_vccnz .LBB59_49
; %bb.48:
	v_dual_mov_b32 v3, 0 :: v_dual_add_nc_u32 v2, s26, v3
	s_delay_alu instid0(VALU_DEP_1) | instskip(NEXT) | instid1(VALU_DEP_1)
	v_lshlrev_b64 v[2:3], 1, v[2:3]
	v_add_co_u32 v2, vcc_lo, s12, v2
	s_delay_alu instid0(VALU_DEP_2)
	v_add_co_ci_u32_e32 v3, vcc_lo, s13, v3, vcc_lo
	global_load_u16 v2, v[2:3], off
	s_waitcnt vmcnt(0)
	v_lshlrev_b32_e32 v12, 16, v2
.LBB59_49:
	v_mul_f32_e32 v3, s17, v9
	s_delay_alu instid0(VALU_DEP_1) | instskip(NEXT) | instid1(VALU_DEP_1)
	v_fmac_f32_e32 v3, s16, v10
	v_and_b32_e32 v2, 0x7f800000, v3
	s_delay_alu instid0(VALU_DEP_1) | instskip(SKIP_1) | instid1(SALU_CYCLE_1)
	v_cmp_ne_u32_e32 vcc_lo, 0x7f800000, v2
                                        ; implicit-def: $vgpr2
	s_and_saveexec_b32 s0, vcc_lo
	s_xor_b32 s0, exec_lo, s0
; %bb.50:
	v_bfe_u32 v2, v3, 16, 1
	s_delay_alu instid0(VALU_DEP_1)
	v_add3_u32 v2, v3, v2, 0x7fff
                                        ; implicit-def: $vgpr3
; %bb.51:
	s_and_not1_saveexec_b32 s0, s0
; %bb.52:
	v_and_b32_e32 v2, 0xffff, v3
	v_or_b32_e32 v9, 0x10000, v3
	s_delay_alu instid0(VALU_DEP_2) | instskip(NEXT) | instid1(VALU_DEP_2)
	v_cmp_eq_u32_e32 vcc_lo, 0, v2
	v_cndmask_b32_e32 v2, v9, v3, vcc_lo
; %bb.53:
	s_or_b32 exec_lo, exec_lo, s0
	s_load_b64 s[2:3], s[22:23], 0x4
	v_mul_f32_e32 v15, s17, v14
	v_bfe_u32 v10, v41, 10, 10
	v_bfe_u32 v9, v41, 20, 10
	v_lshrrev_b32_e32 v2, 16, v2
	s_delay_alu instid0(VALU_DEP_4) | instskip(NEXT) | instid1(VALU_DEP_1)
	v_fmac_f32_e32 v15, s16, v13
	v_and_b32_e32 v16, 0x7f800000, v15
	s_waitcnt lgkmcnt(0)
	s_lshr_b32 s0, s2, 16
	s_delay_alu instid0(SALU_CYCLE_1) | instskip(NEXT) | instid1(SALU_CYCLE_1)
	s_mul_i32 s0, s0, s3
	v_mul_lo_u32 v3, s0, v4
	s_mov_b32 s0, exec_lo
	s_delay_alu instid0(VALU_DEP_1) | instskip(NEXT) | instid1(VALU_DEP_1)
	v_mad_u32_u24 v13, v10, s3, v3
	v_add_lshl_u32 v14, v13, v9, 3
                                        ; implicit-def: $vgpr13
	ds_store_b16 v14, v2
	v_cmpx_ne_u32_e32 0x7f800000, v16
	s_xor_b32 s0, exec_lo, s0
; %bb.54:
	v_bfe_u32 v13, v15, 16, 1
	s_delay_alu instid0(VALU_DEP_1)
	v_add3_u32 v13, v15, v13, 0x7fff
                                        ; implicit-def: $vgpr15
; %bb.55:
	s_and_not1_saveexec_b32 s0, s0
; %bb.56:
	v_and_b32_e32 v13, 0xffff, v15
	v_or_b32_e32 v16, 0x10000, v15
	s_delay_alu instid0(VALU_DEP_2) | instskip(NEXT) | instid1(VALU_DEP_2)
	v_cmp_eq_u32_e32 vcc_lo, 0, v13
	v_cndmask_b32_e32 v13, v16, v15, vcc_lo
; %bb.57:
	s_or_b32 exec_lo, exec_lo, s0
	v_mul_f32_e32 v15, s17, v18
	s_delay_alu instid0(VALU_DEP_2) | instskip(NEXT) | instid1(VALU_DEP_2)
	v_lshrrev_b32_e32 v13, 16, v13
	v_fmac_f32_e32 v15, s16, v17
	ds_store_b16 v14, v13 offset:2
	v_and_b32_e32 v16, 0x7f800000, v15
	s_delay_alu instid0(VALU_DEP_1) | instskip(SKIP_1) | instid1(SALU_CYCLE_1)
	v_cmp_ne_u32_e32 vcc_lo, 0x7f800000, v16
                                        ; implicit-def: $vgpr16
	s_and_saveexec_b32 s0, vcc_lo
	s_xor_b32 s0, exec_lo, s0
; %bb.58:
	v_bfe_u32 v16, v15, 16, 1
	s_delay_alu instid0(VALU_DEP_1)
	v_add3_u32 v16, v15, v16, 0x7fff
                                        ; implicit-def: $vgpr15
; %bb.59:
	s_and_not1_saveexec_b32 s0, s0
; %bb.60:
	v_and_b32_e32 v16, 0xffff, v15
	v_or_b32_e32 v17, 0x10000, v15
	s_delay_alu instid0(VALU_DEP_2) | instskip(NEXT) | instid1(VALU_DEP_2)
	v_cmp_eq_u32_e32 vcc_lo, 0, v16
	v_cndmask_b32_e32 v16, v17, v15, vcc_lo
; %bb.61:
	s_or_b32 exec_lo, exec_lo, s0
	v_mul_f32_e32 v12, s17, v12
	s_delay_alu instid0(VALU_DEP_1) | instskip(NEXT) | instid1(VALU_DEP_3)
	v_fmac_f32_e32 v12, s16, v11
	v_lshrrev_b32_e32 v11, 16, v16
	s_delay_alu instid0(VALU_DEP_2) | instskip(SKIP_3) | instid1(SALU_CYCLE_1)
	v_and_b32_e32 v15, 0x7f800000, v12
	ds_store_b16 v14, v11 offset:4
	v_cmp_ne_u32_e32 vcc_lo, 0x7f800000, v15
                                        ; implicit-def: $vgpr15
	s_and_saveexec_b32 s0, vcc_lo
	s_xor_b32 s0, exec_lo, s0
; %bb.62:
	v_bfe_u32 v15, v12, 16, 1
	s_delay_alu instid0(VALU_DEP_1)
	v_add3_u32 v15, v12, v15, 0x7fff
                                        ; implicit-def: $vgpr12
; %bb.63:
	s_and_not1_saveexec_b32 s0, s0
; %bb.64:
	v_and_b32_e32 v15, 0xffff, v12
	v_or_b32_e32 v16, 0x10000, v12
	s_delay_alu instid0(VALU_DEP_2) | instskip(NEXT) | instid1(VALU_DEP_2)
	v_cmp_eq_u32_e32 vcc_lo, 0, v15
	v_cndmask_b32_e32 v15, v16, v12, vcc_lo
; %bb.65:
	s_or_b32 exec_lo, exec_lo, s0
	s_delay_alu instid0(VALU_DEP_1)
	v_lshrrev_b32_e32 v12, 16, v15
	s_mov_b32 s0, exec_lo
	ds_store_b16 v14, v12 offset:6
	v_cmpx_ge_u32_e64 s1, v7
	s_xor_b32 s0, exec_lo, s0
	s_cbranch_execz .LBB59_67
; %bb.66:
	v_mul_lo_u32 v1, v1, s8
                                        ; implicit-def: $vgpr9
                                        ; implicit-def: $vgpr10
	s_delay_alu instid0(VALU_DEP_1) | instskip(NEXT) | instid1(VALU_DEP_1)
	v_add3_u32 v0, v0, s26, v1
	v_sub_nc_u32_e32 v0, v0, v8
	v_mov_b32_e32 v1, 0
	s_delay_alu instid0(VALU_DEP_2) | instskip(NEXT) | instid1(VALU_DEP_2)
	v_add_nc_u32_e32 v3, 1, v0
	v_lshlrev_b64 v[7:8], 1, v[0:1]
	v_add_nc_u32_e32 v5, 2, v0
	v_add_nc_u32_e32 v0, 3, v0
	v_mov_b32_e32 v4, v1
	v_mov_b32_e32 v6, v1
	v_add_co_u32 v7, vcc_lo, s4, v7
	s_delay_alu instid0(VALU_DEP_3) | instskip(NEXT) | instid1(VALU_DEP_3)
	v_lshlrev_b64 v[3:4], 1, v[3:4]
	v_lshlrev_b64 v[5:6], 1, v[5:6]
	v_add_co_ci_u32_e32 v8, vcc_lo, s5, v8, vcc_lo
	v_lshlrev_b64 v[0:1], 1, v[0:1]
	s_delay_alu instid0(VALU_DEP_4)
	v_add_co_u32 v3, vcc_lo, s4, v3
	v_add_co_ci_u32_e32 v4, vcc_lo, s5, v4, vcc_lo
	v_add_co_u32 v5, vcc_lo, s4, v5
	v_add_co_ci_u32_e32 v6, vcc_lo, s5, v6, vcc_lo
	;; [unrolled: 2-line block ×3, first 2 shown]
	s_clause 0x3
	global_store_b16 v[7:8], v2, off
	global_store_b16 v[3:4], v13, off
	;; [unrolled: 1-line block ×4, first 2 shown]
                                        ; implicit-def: $vgpr4
                                        ; implicit-def: $vgpr5
                                        ; implicit-def: $vgpr6
                                        ; implicit-def: $vgpr0
                                        ; implicit-def: $vgpr7
                                        ; implicit-def: $vgpr8
                                        ; implicit-def: $vgpr3
.LBB59_67:
	s_and_not1_saveexec_b32 s0, s0
	s_cbranch_execz .LBB59_71
; %bb.68:
	v_cmp_gt_u32_e32 vcc_lo, 4, v8
	s_and_b32 exec_lo, exec_lo, vcc_lo
	s_cbranch_execz .LBB59_71
; %bb.69:
	v_mul_u32_u24_e32 v1, s3, v10
	v_lshrrev_b32_e32 v2, 4, v4
	v_min_u32_e32 v4, s1, v7
	s_lshl_b32 s0, s15, 4
	s_add_i32 s11, s11, s26
	s_mov_b32 s1, 0
	v_add3_u32 v1, v1, v9, v2
	v_lshl_or_b32 v2, s21, 4, v5
	v_sub_nc_u32_e32 v0, v0, v4
	s_delay_alu instid0(VALU_DEP_3) | instskip(NEXT) | instid1(VALU_DEP_3)
	v_add_lshl_u32 v1, v1, v3, 3
	v_subrev_nc_u32_e32 v2, s0, v2
	v_lshlrev_b32_e32 v3, 1, v4
	s_delay_alu instid0(VALU_DEP_3) | instskip(NEXT) | instid1(VALU_DEP_3)
	v_lshl_add_u32 v1, s14, 7, v1
	v_mul_lo_u32 v5, s8, v2
	v_add_nc_u32_e32 v2, 3, v0
	s_delay_alu instid0(VALU_DEP_3) | instskip(NEXT) | instid1(VALU_DEP_3)
	v_sub_nc_u32_e32 v1, v1, v3
	v_add3_u32 v0, s11, v5, v6
	s_delay_alu instid0(VALU_DEP_2)
	v_add_nc_u32_e32 v3, 8, v1
	v_mov_b32_e32 v1, 0
	.p2align	6
.LBB59_70:                              ; =>This Inner Loop Header: Depth=1
	ds_load_u16 v6, v3
	v_lshlrev_b64 v[4:5], 1, v[0:1]
	v_add_nc_u32_e32 v2, 1, v2
	v_add_nc_u32_e32 v0, 1, v0
	v_add_nc_u32_e32 v3, 2, v3
	s_delay_alu instid0(VALU_DEP_3) | instskip(SKIP_1) | instid1(VALU_DEP_1)
	v_cmp_lt_u32_e32 vcc_lo, 2, v2
	v_add_co_u32 v4, s0, s4, v4
	v_add_co_ci_u32_e64 v5, s0, s5, v5, s0
	s_or_b32 s1, vcc_lo, s1
	s_waitcnt lgkmcnt(0)
	global_store_b16 v[4:5], v6, off
	s_and_not1_b32 exec_lo, exec_lo, s1
	s_cbranch_execnz .LBB59_70
.LBB59_71:
	s_endpgm
	.section	.rodata,"a",@progbits
	.p2align	6, 0x0
	.amdhsa_kernel Transform_BF16_S_011_16_16_VW_4
		.amdhsa_group_segment_fixed_size 8192
		.amdhsa_private_segment_fixed_size 64
		.amdhsa_kernarg_size 344
		.amdhsa_user_sgpr_count 14
		.amdhsa_user_sgpr_dispatch_ptr 1
		.amdhsa_user_sgpr_queue_ptr 0
		.amdhsa_user_sgpr_kernarg_segment_ptr 1
		.amdhsa_user_sgpr_dispatch_id 0
		.amdhsa_user_sgpr_private_segment_size 0
		.amdhsa_wavefront_size32 1
		.amdhsa_uses_dynamic_stack 0
		.amdhsa_enable_private_segment 1
		.amdhsa_system_sgpr_workgroup_id_x 1
		.amdhsa_system_sgpr_workgroup_id_y 0
		.amdhsa_system_sgpr_workgroup_id_z 1
		.amdhsa_system_sgpr_workgroup_info 0
		.amdhsa_system_vgpr_workitem_id 2
		.amdhsa_next_free_vgpr 42
		.amdhsa_next_free_sgpr 34
		.amdhsa_reserve_vcc 1
		.amdhsa_float_round_mode_32 0
		.amdhsa_float_round_mode_16_64 0
		.amdhsa_float_denorm_mode_32 3
		.amdhsa_float_denorm_mode_16_64 3
		.amdhsa_dx10_clamp 1
		.amdhsa_ieee_mode 1
		.amdhsa_fp16_overflow 0
		.amdhsa_workgroup_processor_mode 1
		.amdhsa_memory_ordered 1
		.amdhsa_forward_progress 0
		.amdhsa_shared_vgpr_count 0
		.amdhsa_exception_fp_ieee_invalid_op 0
		.amdhsa_exception_fp_denorm_src 0
		.amdhsa_exception_fp_ieee_div_zero 0
		.amdhsa_exception_fp_ieee_overflow 0
		.amdhsa_exception_fp_ieee_underflow 0
		.amdhsa_exception_fp_ieee_inexact 0
		.amdhsa_exception_int_div_zero 0
	.end_amdhsa_kernel
	.text
.Lfunc_end59:
	.size	Transform_BF16_S_011_16_16_VW_4, .Lfunc_end59-Transform_BF16_S_011_16_16_VW_4
                                        ; -- End function
	.section	.AMDGPU.csdata,"",@progbits
; Kernel info:
; codeLenInByte = 2332
; NumSgprs: 36
; NumVgprs: 42
; ScratchSize: 64
; MemoryBound: 0
; FloatMode: 240
; IeeeMode: 1
; LDSByteSize: 8192 bytes/workgroup (compile time only)
; SGPRBlocks: 4
; VGPRBlocks: 5
; NumSGPRsForWavesPerEU: 36
; NumVGPRsForWavesPerEU: 42
; Occupancy: 16
; WaveLimiterHint : 1
; COMPUTE_PGM_RSRC2:SCRATCH_EN: 1
; COMPUTE_PGM_RSRC2:USER_SGPR: 14
; COMPUTE_PGM_RSRC2:TRAP_HANDLER: 0
; COMPUTE_PGM_RSRC2:TGID_X_EN: 1
; COMPUTE_PGM_RSRC2:TGID_Y_EN: 0
; COMPUTE_PGM_RSRC2:TGID_Z_EN: 1
; COMPUTE_PGM_RSRC2:TIDIG_COMP_CNT: 2
	.text
	.protected	Transform_BF16_S_010_16_16_VW_1 ; -- Begin function Transform_BF16_S_010_16_16_VW_1
	.globl	Transform_BF16_S_010_16_16_VW_1
	.p2align	8
	.type	Transform_BF16_S_010_16_16_VW_1,@function
Transform_BF16_S_010_16_16_VW_1:        ; @Transform_BF16_S_010_16_16_VW_1
; %bb.0:
	s_mov_b64 s[22:23], s[0:1]
	s_load_b32 s0, s[0:1], 0x64
	v_mov_b32_e32 v41, v0
	s_mov_b32 s21, s15
	s_mov_b32 s24, s14
	;; [unrolled: 1-line block ×3, first 2 shown]
	s_waitcnt lgkmcnt(0)
	v_cmp_eq_u16_e64 s0, 0x100, s0
	s_delay_alu instid0(VALU_DEP_1)
	s_and_b32 vcc_lo, exec_lo, s0
	s_mov_b32 s0, -1
	s_cbranch_vccnz .LBB60_2
; %bb.1:
	s_add_u32 s8, s22, 0x58
	s_addc_u32 s9, s23, 0
	s_getpc_b64 s[0:1]
	s_add_u32 s0, s0, __PRETTY_FUNCTION__._ZN10amd_detail9transformI12hip_bfloat16fLb0ELb1ELb0ELj16ELj16ELj1EEEvPT_PKS2_S5_T0_PKS6_S6_S8_jjjjjjbb@rel32@lo+4
	s_addc_u32 s1, s1, __PRETTY_FUNCTION__._ZN10amd_detail9transformI12hip_bfloat16fLb0ELb1ELb0ELj16ELj16ELj1EEEvPT_PKS2_S5_T0_PKS6_S6_S8_jjjjjjbb@rel32@hi+12
	s_delay_alu instid0(SALU_CYCLE_1) | instskip(SKIP_3) | instid1(SALU_CYCLE_1)
	v_dual_mov_b32 v0, s0 :: v_dual_mov_b32 v1, s1
	s_getpc_b64 s[2:3]
	s_add_u32 s2, s2, __assert_fail@rel32@lo+4
	s_addc_u32 s3, s3, __assert_fail@rel32@hi+12
	s_swappc_b64 s[30:31], s[2:3]
	; divergent unreachable
	s_mov_b32 s0, 0
.LBB60_2:
	s_delay_alu instid0(SALU_CYCLE_1)
	s_and_not1_b32 vcc_lo, exec_lo, s0
	s_cbranch_vccnz .LBB60_18
; %bb.3:
	s_load_b256 s[0:7], s[22:23], 0x38
	s_waitcnt lgkmcnt(0)
	s_and_b32 s7, s0, 15
	s_lshr_b32 s8, s0, 4
	s_cmp_lg_u32 s7, 0
	s_cselect_b32 s7, -1, 0
	s_delay_alu instid0(SALU_CYCLE_1) | instskip(SKIP_4) | instid1(VALU_DEP_1)
	s_cmp_lg_u32 s7, 0
	s_addc_u32 s10, s8, 0
	s_load_b64 s[8:9], s[22:23], 0x20
	v_cvt_f32_u32_e32 v0, s10
	s_sub_i32 s11, 0, s10
	v_rcp_iflag_f32_e32 v0, v0
	s_waitcnt_depctr 0xfff
	v_mul_f32_e32 v0, 0x4f7ffffe, v0
	s_delay_alu instid0(VALU_DEP_1) | instskip(NEXT) | instid1(VALU_DEP_1)
	v_cvt_u32_f32_e32 v0, v0
	v_readfirstlane_b32 s7, v0
	s_delay_alu instid0(VALU_DEP_1) | instskip(NEXT) | instid1(SALU_CYCLE_1)
	s_mul_i32 s11, s11, s7
	s_mul_hi_u32 s11, s7, s11
	s_delay_alu instid0(SALU_CYCLE_1)
	s_add_i32 s7, s7, s11
	s_waitcnt lgkmcnt(0)
	s_cmp_eq_u64 s[8:9], 0
	s_mul_hi_u32 s11, s24, s7
	s_cbranch_scc1 .LBB60_6
; %bb.4:
	s_load_b32 s7, s[8:9], 0x0
	s_load_b64 s[8:9], s[22:23], 0x30
	s_waitcnt lgkmcnt(0)
	s_cmp_eq_u64 s[8:9], 0
	s_cbranch_scc1 .LBB60_7
.LBB60_5:
	s_load_b32 s12, s[8:9], 0x0
	s_branch .LBB60_8
.LBB60_6:
	s_clause 0x1
	s_load_b32 s7, s[22:23], 0x18
	s_load_b64 s[8:9], s[22:23], 0x30
	s_waitcnt lgkmcnt(0)
	s_cmp_eq_u64 s[8:9], 0
	s_cbranch_scc0 .LBB60_5
.LBB60_7:
	s_load_b32 s12, s[22:23], 0x28
.LBB60_8:
	s_mul_i32 s8, s11, s10
	s_add_i32 s9, s11, 1
	s_sub_i32 s8, s24, s8
	v_and_b32_e32 v0, 15, v41
	s_sub_i32 s13, s8, s10
	s_cmp_ge_u32 s8, s10
	v_lshrrev_b32_e32 v1, 4, v41
	s_cselect_b32 s9, s9, s11
	s_cselect_b32 s8, s13, s8
	s_add_i32 s11, s9, 1
	s_cmp_ge_u32 s8, s10
	s_cselect_b32 s8, s11, s9
	s_delay_alu instid0(SALU_CYCLE_1) | instskip(SKIP_2) | instid1(SALU_CYCLE_1)
	s_mul_i32 s9, s8, s10
	v_lshl_add_u32 v1, s8, 4, v1
	s_sub_i32 s9, s24, s9
	v_lshl_or_b32 v0, s9, 4, v0
	s_delay_alu instid0(VALU_DEP_1) | instskip(NEXT) | instid1(VALU_DEP_3)
	v_cmp_gt_u32_e32 vcc_lo, s0, v0
	v_cmp_gt_u32_e64 s0, s1, v1
	s_delay_alu instid0(VALU_DEP_1) | instskip(NEXT) | instid1(SALU_CYCLE_1)
	s_and_b32 s0, vcc_lo, s0
	s_and_saveexec_b32 s1, s0
	s_cbranch_execz .LBB60_18
; %bb.9:
	s_clause 0x1
	s_load_b128 s[8:11], s[22:23], 0x0
	s_load_b64 s[0:1], s[22:23], 0x10
	v_dual_mov_b32 v3, 0 :: v_dual_mov_b32 v2, 0
	s_mul_i32 s21, s21, s5
	s_waitcnt lgkmcnt(0)
	s_cmp_eq_u64 s[10:11], 0
	s_cbranch_scc1 .LBB60_11
; %bb.10:
	s_bitcmp1_b32 s6, 0
	v_mov_b32_e32 v5, 0
	s_cselect_b32 vcc_lo, -1, 0
	v_cndmask_b32_e32 v2, v1, v0, vcc_lo
	v_cndmask_b32_e32 v4, v0, v1, vcc_lo
	s_delay_alu instid0(VALU_DEP_2) | instskip(NEXT) | instid1(VALU_DEP_1)
	v_mul_lo_u32 v2, v2, s2
	v_add3_u32 v4, v4, s21, v2
	s_delay_alu instid0(VALU_DEP_1) | instskip(NEXT) | instid1(VALU_DEP_1)
	v_lshlrev_b64 v[4:5], 1, v[4:5]
	v_add_co_u32 v4, vcc_lo, s10, v4
	s_delay_alu instid0(VALU_DEP_2)
	v_add_co_ci_u32_e32 v5, vcc_lo, s11, v5, vcc_lo
	global_load_u16 v2, v[4:5], off
	s_waitcnt vmcnt(0)
	v_lshlrev_b32_e32 v2, 16, v2
.LBB60_11:
	s_cmp_eq_u64 s[0:1], 0
	s_cbranch_scc1 .LBB60_13
; %bb.12:
	s_load_b32 s2, s[22:23], 0x50
	v_mov_b32_e32 v4, 0
	s_waitcnt lgkmcnt(0)
	s_bitcmp1_b32 s2, 8
	s_cselect_b32 vcc_lo, -1, 0
	v_cndmask_b32_e32 v3, v0, v1, vcc_lo
	v_cndmask_b32_e32 v5, v1, v0, vcc_lo
	s_delay_alu instid0(VALU_DEP_2) | instskip(NEXT) | instid1(VALU_DEP_1)
	v_mul_lo_u32 v3, v3, s3
	v_add3_u32 v3, v5, s21, v3
	s_delay_alu instid0(VALU_DEP_1) | instskip(NEXT) | instid1(VALU_DEP_1)
	v_lshlrev_b64 v[3:4], 1, v[3:4]
	v_add_co_u32 v3, vcc_lo, s0, v3
	s_delay_alu instid0(VALU_DEP_2)
	v_add_co_ci_u32_e32 v4, vcc_lo, s1, v4, vcc_lo
	global_load_u16 v3, v[3:4], off
	s_waitcnt vmcnt(0)
	v_lshlrev_b32_e32 v3, 16, v3
.LBB60_13:
	s_delay_alu instid0(VALU_DEP_1) | instskip(NEXT) | instid1(VALU_DEP_1)
	v_mul_f32_e32 v3, s12, v3
	v_fmac_f32_e32 v3, s7, v2
	s_delay_alu instid0(VALU_DEP_1) | instskip(NEXT) | instid1(VALU_DEP_1)
	v_and_b32_e32 v2, 0x7f800000, v3
	v_cmp_ne_u32_e32 vcc_lo, 0x7f800000, v2
                                        ; implicit-def: $vgpr2
	s_and_saveexec_b32 s0, vcc_lo
	s_delay_alu instid0(SALU_CYCLE_1)
	s_xor_b32 s0, exec_lo, s0
; %bb.14:
	v_bfe_u32 v2, v3, 16, 1
	s_delay_alu instid0(VALU_DEP_1)
	v_add3_u32 v2, v3, v2, 0x7fff
                                        ; implicit-def: $vgpr3
; %bb.15:
	s_and_not1_saveexec_b32 s0, s0
; %bb.16:
	v_and_b32_e32 v2, 0xffff, v3
	v_or_b32_e32 v4, 0x10000, v3
	s_delay_alu instid0(VALU_DEP_2) | instskip(NEXT) | instid1(VALU_DEP_2)
	v_cmp_eq_u32_e32 vcc_lo, 0, v2
	v_cndmask_b32_e32 v2, v4, v3, vcc_lo
; %bb.17:
	s_or_b32 exec_lo, exec_lo, s0
	v_mul_lo_u32 v3, v1, s4
	v_mov_b32_e32 v1, 0
	s_delay_alu instid0(VALU_DEP_2) | instskip(NEXT) | instid1(VALU_DEP_1)
	v_add3_u32 v0, v0, s21, v3
	v_lshlrev_b64 v[0:1], 1, v[0:1]
	s_delay_alu instid0(VALU_DEP_1) | instskip(NEXT) | instid1(VALU_DEP_2)
	v_add_co_u32 v0, vcc_lo, s8, v0
	v_add_co_ci_u32_e32 v1, vcc_lo, s9, v1, vcc_lo
	global_store_d16_hi_b16 v[0:1], v2, off
.LBB60_18:
	s_endpgm
	.section	.rodata,"a",@progbits
	.p2align	6, 0x0
	.amdhsa_kernel Transform_BF16_S_010_16_16_VW_1
		.amdhsa_group_segment_fixed_size 0
		.amdhsa_private_segment_fixed_size 64
		.amdhsa_kernarg_size 344
		.amdhsa_user_sgpr_count 14
		.amdhsa_user_sgpr_dispatch_ptr 0
		.amdhsa_user_sgpr_queue_ptr 0
		.amdhsa_user_sgpr_kernarg_segment_ptr 1
		.amdhsa_user_sgpr_dispatch_id 0
		.amdhsa_user_sgpr_private_segment_size 0
		.amdhsa_wavefront_size32 1
		.amdhsa_uses_dynamic_stack 0
		.amdhsa_enable_private_segment 1
		.amdhsa_system_sgpr_workgroup_id_x 1
		.amdhsa_system_sgpr_workgroup_id_y 0
		.amdhsa_system_sgpr_workgroup_id_z 1
		.amdhsa_system_sgpr_workgroup_info 0
		.amdhsa_system_vgpr_workitem_id 0
		.amdhsa_next_free_vgpr 42
		.amdhsa_next_free_sgpr 34
		.amdhsa_reserve_vcc 1
		.amdhsa_float_round_mode_32 0
		.amdhsa_float_round_mode_16_64 0
		.amdhsa_float_denorm_mode_32 3
		.amdhsa_float_denorm_mode_16_64 3
		.amdhsa_dx10_clamp 1
		.amdhsa_ieee_mode 1
		.amdhsa_fp16_overflow 0
		.amdhsa_workgroup_processor_mode 1
		.amdhsa_memory_ordered 1
		.amdhsa_forward_progress 0
		.amdhsa_shared_vgpr_count 0
		.amdhsa_exception_fp_ieee_invalid_op 0
		.amdhsa_exception_fp_denorm_src 0
		.amdhsa_exception_fp_ieee_div_zero 0
		.amdhsa_exception_fp_ieee_overflow 0
		.amdhsa_exception_fp_ieee_underflow 0
		.amdhsa_exception_fp_ieee_inexact 0
		.amdhsa_exception_int_div_zero 0
	.end_amdhsa_kernel
	.text
.Lfunc_end60:
	.size	Transform_BF16_S_010_16_16_VW_1, .Lfunc_end60-Transform_BF16_S_010_16_16_VW_1
                                        ; -- End function
	.section	.AMDGPU.csdata,"",@progbits
; Kernel info:
; codeLenInByte = 848
; NumSgprs: 36
; NumVgprs: 42
; ScratchSize: 64
; MemoryBound: 0
; FloatMode: 240
; IeeeMode: 1
; LDSByteSize: 0 bytes/workgroup (compile time only)
; SGPRBlocks: 4
; VGPRBlocks: 5
; NumSGPRsForWavesPerEU: 36
; NumVGPRsForWavesPerEU: 42
; Occupancy: 16
; WaveLimiterHint : 1
; COMPUTE_PGM_RSRC2:SCRATCH_EN: 1
; COMPUTE_PGM_RSRC2:USER_SGPR: 14
; COMPUTE_PGM_RSRC2:TRAP_HANDLER: 0
; COMPUTE_PGM_RSRC2:TGID_X_EN: 1
; COMPUTE_PGM_RSRC2:TGID_Y_EN: 0
; COMPUTE_PGM_RSRC2:TGID_Z_EN: 1
; COMPUTE_PGM_RSRC2:TIDIG_COMP_CNT: 0
	.text
	.protected	Transform_BF16_S_010_16_16_VW_4 ; -- Begin function Transform_BF16_S_010_16_16_VW_4
	.globl	Transform_BF16_S_010_16_16_VW_4
	.p2align	8
	.type	Transform_BF16_S_010_16_16_VW_4,@function
Transform_BF16_S_010_16_16_VW_4:        ; @Transform_BF16_S_010_16_16_VW_4
; %bb.0:
	s_mov_b64 s[22:23], s[0:1]
	s_load_b32 s0, s[2:3], 0x64
	v_mov_b32_e32 v41, v0
	s_mov_b32 s26, s15
	s_mov_b64 s[24:25], s[2:3]
	s_mov_b32 s21, s14
	s_mov_b32 s32, 0
	s_waitcnt lgkmcnt(0)
	v_cmp_eq_u16_e64 s0, 0x100, s0
	s_delay_alu instid0(VALU_DEP_1)
	s_and_b32 vcc_lo, exec_lo, s0
	s_mov_b32 s0, -1
	s_cbranch_vccnz .LBB61_2
; %bb.1:
	s_add_u32 s8, s24, 0x58
	s_addc_u32 s9, s25, 0
	s_getpc_b64 s[0:1]
	s_add_u32 s0, s0, __PRETTY_FUNCTION__._ZN10amd_detail9transformI12hip_bfloat16fLb0ELb1ELb0ELj16ELj16ELj4EEEvPT_PKS2_S5_T0_PKS6_S6_S8_jjjjjjbb@rel32@lo+4
	s_addc_u32 s1, s1, __PRETTY_FUNCTION__._ZN10amd_detail9transformI12hip_bfloat16fLb0ELb1ELb0ELj16ELj16ELj4EEEvPT_PKS2_S5_T0_PKS6_S6_S8_jjjjjjbb@rel32@hi+12
	s_delay_alu instid0(SALU_CYCLE_1) | instskip(SKIP_3) | instid1(SALU_CYCLE_1)
	v_dual_mov_b32 v0, s0 :: v_dual_mov_b32 v1, s1
	s_getpc_b64 s[2:3]
	s_add_u32 s2, s2, __assert_fail@rel32@lo+4
	s_addc_u32 s3, s3, __assert_fail@rel32@hi+12
	s_swappc_b64 s[30:31], s[2:3]
	; divergent unreachable
	s_mov_b32 s0, 0
.LBB61_2:
	s_delay_alu instid0(SALU_CYCLE_1)
	s_and_not1_b32 vcc_lo, exec_lo, s0
	s_cbranch_vccnz .LBB61_71
; %bb.3:
	s_load_b256 s[4:11], s[24:25], 0x38
	s_waitcnt lgkmcnt(0)
	s_and_b32 s0, s4, 63
	s_lshr_b32 s1, s4, 6
	s_cmp_lg_u32 s0, 0
	s_cselect_b32 s0, -1, 0
	s_delay_alu instid0(SALU_CYCLE_1) | instskip(SKIP_4) | instid1(VALU_DEP_1)
	s_cmp_lg_u32 s0, 0
	s_addc_u32 s2, s1, 0
	s_load_b64 s[0:1], s[24:25], 0x20
	v_cvt_f32_u32_e32 v0, s2
	s_sub_i32 s11, 0, s2
	v_rcp_iflag_f32_e32 v0, v0
	s_waitcnt_depctr 0xfff
	v_mul_f32_e32 v0, 0x4f7ffffe, v0
	s_delay_alu instid0(VALU_DEP_1) | instskip(NEXT) | instid1(VALU_DEP_1)
	v_cvt_u32_f32_e32 v0, v0
	v_readfirstlane_b32 s3, v0
	s_delay_alu instid0(VALU_DEP_1) | instskip(NEXT) | instid1(SALU_CYCLE_1)
	s_mul_i32 s11, s11, s3
	s_mul_hi_u32 s11, s3, s11
	s_delay_alu instid0(SALU_CYCLE_1)
	s_add_i32 s3, s3, s11
	s_waitcnt lgkmcnt(0)
	s_cmp_eq_u64 s[0:1], 0
	s_mul_hi_u32 s3, s21, s3
	s_cbranch_scc1 .LBB61_6
; %bb.4:
	s_load_b32 s11, s[0:1], 0x0
	s_load_b64 s[0:1], s[24:25], 0x30
	s_waitcnt lgkmcnt(0)
	s_cmp_eq_u64 s[0:1], 0
	s_cbranch_scc1 .LBB61_7
.LBB61_5:
	s_load_b32 s16, s[0:1], 0x0
	s_branch .LBB61_8
.LBB61_6:
	s_clause 0x1
	s_load_b32 s11, s[24:25], 0x18
	s_load_b64 s[0:1], s[24:25], 0x30
	s_waitcnt lgkmcnt(0)
	s_cmp_eq_u64 s[0:1], 0
	s_cbranch_scc0 .LBB61_5
.LBB61_7:
	s_load_b32 s16, s[24:25], 0x28
.LBB61_8:
	s_mul_i32 s0, s3, s2
	v_and_b32_e32 v8, 0x3ff, v41
	s_sub_i32 s0, s21, s0
	s_add_i32 s1, s3, 1
	s_sub_i32 s12, s0, s2
	s_cmp_ge_u32 s0, s2
	v_lshrrev_b32_e32 v0, 4, v8
	s_cselect_b32 s1, s1, s3
	s_cselect_b32 s0, s12, s0
	s_add_i32 s3, s1, 1
	s_cmp_ge_u32 s0, s2
	s_cselect_b32 s0, s3, s1
	s_mov_b32 s1, exec_lo
	v_lshl_add_u32 v0, s0, 4, v0
	s_delay_alu instid0(VALU_DEP_1)
	v_cmpx_gt_u32_e64 s5, v0
	s_cbranch_execz .LBB61_71
; %bb.9:
	v_dual_mov_b32 v14, 0 :: v_dual_lshlrev_b32 v1, 2, v8
	s_mul_i32 s5, s0, s2
	s_clause 0x1
	s_load_b128 s[12:15], s[24:25], 0x0
	s_load_b64 s[2:3], s[24:25], 0x10
	v_and_b32_e32 v9, 60, v1
	s_sub_i32 s0, s21, s5
	s_bitcmp1_b32 s10, 0
	s_mul_i32 s26, s26, s9
	s_cselect_b32 vcc_lo, -1, 0
	v_lshl_or_b32 v11, s0, 6, v9
	s_delay_alu instid0(VALU_DEP_1) | instskip(NEXT) | instid1(VALU_DEP_1)
	v_dual_mov_b32 v13, 0 :: v_dual_add_nc_u32 v12, 4, v11
	v_sub_nc_u32_e64 v10, v12, s4 clamp
	s_waitcnt lgkmcnt(0)
	s_cmp_lg_u64 s[14:15], 0
	s_cselect_b32 s1, -1, 0
	s_delay_alu instid0(VALU_DEP_1) | instskip(SKIP_1) | instid1(VALU_DEP_1)
	v_sub_nc_u32_e32 v1, v11, v10
	s_cmp_eq_u64 s[14:15], 0
	v_mad_u64_u32 v[4:5], null, v0, s6, v[1:2]
	s_cbranch_scc1 .LBB61_11
; %bb.10:
	v_mad_u64_u32 v[2:3], null, v1, s6, v[0:1]
	s_delay_alu instid0(VALU_DEP_1) | instskip(NEXT) | instid1(VALU_DEP_1)
	v_dual_mov_b32 v3, 0 :: v_dual_cndmask_b32 v2, v4, v2
	v_add_nc_u32_e32 v2, s26, v2
	s_delay_alu instid0(VALU_DEP_1) | instskip(NEXT) | instid1(VALU_DEP_1)
	v_lshlrev_b64 v[2:3], 1, v[2:3]
	v_add_co_u32 v2, s0, s14, v2
	s_delay_alu instid0(VALU_DEP_1)
	v_add_co_ci_u32_e64 v3, s0, s15, v3, s0
	global_load_u16 v2, v[2:3], off
	s_waitcnt vmcnt(0)
	v_lshlrev_b32_e32 v13, 16, v2
.LBB61_11:
	s_load_b32 s0, s[24:25], 0x50
	v_mad_u64_u32 v[2:3], null, v0, s7, v[1:2]
	s_xor_b32 s10, vcc_lo, -1
	s_waitcnt lgkmcnt(0)
	s_bitcmp1_b32 s0, 8
	s_cselect_b32 s0, -1, 0
	s_cmp_lg_u64 s[2:3], 0
	s_cselect_b32 s9, -1, 0
	s_cmp_eq_u64 s[2:3], 0
	s_cbranch_scc1 .LBB61_13
; %bb.12:
	v_mad_u64_u32 v[5:6], null, v1, s7, v[0:1]
	s_delay_alu instid0(VALU_DEP_1) | instskip(NEXT) | instid1(VALU_DEP_1)
	v_cndmask_b32_e64 v3, v5, v2, s0
	v_dual_mov_b32 v6, 0 :: v_dual_add_nc_u32 v5, s26, v3
	s_delay_alu instid0(VALU_DEP_1) | instskip(NEXT) | instid1(VALU_DEP_1)
	v_lshlrev_b64 v[5:6], 1, v[5:6]
	v_add_co_u32 v5, vcc_lo, s2, v5
	s_delay_alu instid0(VALU_DEP_2)
	v_add_co_ci_u32_e32 v6, vcc_lo, s3, v6, vcc_lo
	global_load_u16 v3, v[5:6], off
	s_waitcnt vmcnt(0)
	v_lshlrev_b32_e32 v14, 16, v3
.LBB61_13:
	v_cndmask_b32_e64 v3, 0, 1, s10
	s_and_not1_b32 vcc_lo, exec_lo, s10
	s_cbranch_vccnz .LBB61_15
; %bb.14:
	v_add_nc_u32_e32 v5, 1, v4
	s_xor_b32 s0, s0, -1
	s_cbranch_execz .LBB61_16
	s_branch .LBB61_17
.LBB61_15:
                                        ; implicit-def: $vgpr5
	s_xor_b32 s0, s0, -1
.LBB61_16:
	v_mul_lo_u32 v5, s6, v1
	s_delay_alu instid0(VALU_DEP_1)
	v_add3_u32 v5, v5, s6, v0
.LBB61_17:
	v_cndmask_b32_e64 v18, 0, 1, s0
	s_and_not1_b32 vcc_lo, exec_lo, s0
	s_cbranch_vccnz .LBB61_19
; %bb.18:
	v_mul_lo_u32 v6, s7, v1
	s_delay_alu instid0(VALU_DEP_1)
	v_add3_u32 v6, v6, s7, v0
	s_cbranch_execz .LBB61_20
	s_branch .LBB61_21
.LBB61_19:
                                        ; implicit-def: $vgpr6
.LBB61_20:
	v_add_nc_u32_e32 v6, 1, v2
.LBB61_21:
	v_cndmask_b32_e64 v19, 0, 1, s1
	v_dual_mov_b32 v16, 0 :: v_dual_mov_b32 v15, 0
	s_and_not1_b32 vcc_lo, exec_lo, s1
	s_cbranch_vccnz .LBB61_23
; %bb.22:
	v_dual_mov_b32 v21, 0 :: v_dual_add_nc_u32 v20, s26, v5
	s_delay_alu instid0(VALU_DEP_1) | instskip(NEXT) | instid1(VALU_DEP_1)
	v_lshlrev_b64 v[20:21], 1, v[20:21]
	v_add_co_u32 v20, vcc_lo, s14, v20
	s_delay_alu instid0(VALU_DEP_2)
	v_add_co_ci_u32_e32 v21, vcc_lo, s15, v21, vcc_lo
	global_load_u16 v5, v[20:21], off
	s_waitcnt vmcnt(0)
	v_lshlrev_b32_e32 v15, 16, v5
.LBB61_23:
	v_cndmask_b32_e64 v20, 0, 1, s9
	s_and_not1_b32 vcc_lo, exec_lo, s9
	s_cbranch_vccnz .LBB61_25
; %bb.24:
	v_dual_mov_b32 v6, 0 :: v_dual_add_nc_u32 v5, s26, v6
	s_delay_alu instid0(VALU_DEP_1) | instskip(NEXT) | instid1(VALU_DEP_1)
	v_lshlrev_b64 v[5:6], 1, v[5:6]
	v_add_co_u32 v5, vcc_lo, s2, v5
	s_delay_alu instid0(VALU_DEP_2)
	v_add_co_ci_u32_e32 v6, vcc_lo, s3, v6, vcc_lo
	global_load_u16 v5, v[5:6], off
	s_waitcnt vmcnt(0)
	v_lshlrev_b32_e32 v16, 16, v5
.LBB61_25:
	v_cmp_ne_u32_e32 vcc_lo, 1, v3
	s_cbranch_vccnz .LBB61_27
; %bb.26:
	v_add_nc_u32_e32 v5, 2, v4
	v_add_nc_u32_e32 v17, 2, v1
	s_cbranch_execz .LBB61_28
	s_branch .LBB61_29
.LBB61_27:
                                        ; implicit-def: $vgpr5
	v_add_nc_u32_e32 v17, 2, v1
.LBB61_28:
	s_delay_alu instid0(VALU_DEP_1)
	v_mad_u64_u32 v[5:6], null, v17, s6, v[0:1]
.LBB61_29:
	v_cmp_ne_u32_e32 vcc_lo, 1, v18
	s_cbranch_vccnz .LBB61_31
; %bb.30:
	v_mad_u64_u32 v[6:7], null, v17, s7, v[0:1]
	s_cbranch_execz .LBB61_32
	s_branch .LBB61_33
.LBB61_31:
                                        ; implicit-def: $vgpr6
.LBB61_32:
	v_add_nc_u32_e32 v6, 2, v2
.LBB61_33:
	v_cmp_ne_u32_e32 vcc_lo, 1, v19
	v_mov_b32_e32 v17, 0
	v_mov_b32_e32 v7, 0
	s_cbranch_vccnz .LBB61_35
; %bb.34:
	v_dual_mov_b32 v22, 0 :: v_dual_add_nc_u32 v21, s26, v5
	s_delay_alu instid0(VALU_DEP_1) | instskip(NEXT) | instid1(VALU_DEP_1)
	v_lshlrev_b64 v[21:22], 1, v[21:22]
	v_add_co_u32 v21, vcc_lo, s14, v21
	s_delay_alu instid0(VALU_DEP_2)
	v_add_co_ci_u32_e32 v22, vcc_lo, s15, v22, vcc_lo
	global_load_u16 v5, v[21:22], off
	s_waitcnt vmcnt(0)
	v_lshlrev_b32_e32 v7, 16, v5
.LBB61_35:
	v_cmp_ne_u32_e32 vcc_lo, 1, v20
	s_cbranch_vccnz .LBB61_37
; %bb.36:
	v_dual_mov_b32 v6, 0 :: v_dual_add_nc_u32 v5, s26, v6
	s_delay_alu instid0(VALU_DEP_1) | instskip(NEXT) | instid1(VALU_DEP_1)
	v_lshlrev_b64 v[5:6], 1, v[5:6]
	v_add_co_u32 v5, vcc_lo, s2, v5
	s_delay_alu instid0(VALU_DEP_2)
	v_add_co_ci_u32_e32 v6, vcc_lo, s3, v6, vcc_lo
	global_load_u16 v5, v[5:6], off
	s_waitcnt vmcnt(0)
	v_lshlrev_b32_e32 v17, 16, v5
.LBB61_37:
	v_cmp_ne_u32_e32 vcc_lo, 1, v3
	s_cbranch_vccnz .LBB61_39
; %bb.38:
	v_add_nc_u32_e32 v3, 3, v4
	v_add_nc_u32_e32 v1, 3, v1
	s_cbranch_execz .LBB61_40
	s_branch .LBB61_41
.LBB61_39:
                                        ; implicit-def: $vgpr3
	v_add_nc_u32_e32 v1, 3, v1
.LBB61_40:
	s_delay_alu instid0(VALU_DEP_1)
	v_mad_u64_u32 v[3:4], null, v1, s6, v[0:1]
.LBB61_41:
	v_cmp_ne_u32_e32 vcc_lo, 1, v18
	s_cbranch_vccnz .LBB61_43
; %bb.42:
	v_mad_u64_u32 v[4:5], null, v1, s7, v[0:1]
	s_cbranch_execz .LBB61_44
	s_branch .LBB61_45
.LBB61_43:
                                        ; implicit-def: $vgpr4
.LBB61_44:
	v_add_nc_u32_e32 v4, 3, v2
.LBB61_45:
	v_cmp_ne_u32_e32 vcc_lo, 1, v19
	v_dual_mov_b32 v6, 0 :: v_dual_mov_b32 v5, 0
	s_cbranch_vccnz .LBB61_47
; %bb.46:
	v_dual_mov_b32 v2, 0 :: v_dual_add_nc_u32 v1, s26, v3
	s_delay_alu instid0(VALU_DEP_1) | instskip(NEXT) | instid1(VALU_DEP_1)
	v_lshlrev_b64 v[1:2], 1, v[1:2]
	v_add_co_u32 v1, vcc_lo, s14, v1
	s_delay_alu instid0(VALU_DEP_2)
	v_add_co_ci_u32_e32 v2, vcc_lo, s15, v2, vcc_lo
	global_load_u16 v1, v[1:2], off
	s_waitcnt vmcnt(0)
	v_lshlrev_b32_e32 v5, 16, v1
.LBB61_47:
	v_cmp_ne_u32_e32 vcc_lo, 1, v20
	s_cbranch_vccnz .LBB61_49
; %bb.48:
	v_dual_mov_b32 v2, 0 :: v_dual_add_nc_u32 v1, s26, v4
	s_delay_alu instid0(VALU_DEP_1) | instskip(NEXT) | instid1(VALU_DEP_1)
	v_lshlrev_b64 v[1:2], 1, v[1:2]
	v_add_co_u32 v1, vcc_lo, s2, v1
	s_delay_alu instid0(VALU_DEP_2)
	v_add_co_ci_u32_e32 v2, vcc_lo, s3, v2, vcc_lo
	global_load_u16 v1, v[1:2], off
	s_waitcnt vmcnt(0)
	v_lshlrev_b32_e32 v6, 16, v1
.LBB61_49:
	v_mul_f32_e32 v2, s16, v14
	s_delay_alu instid0(VALU_DEP_1) | instskip(NEXT) | instid1(VALU_DEP_1)
	v_fmac_f32_e32 v2, s11, v13
	v_and_b32_e32 v1, 0x7f800000, v2
	s_delay_alu instid0(VALU_DEP_1) | instskip(SKIP_1) | instid1(SALU_CYCLE_1)
	v_cmp_ne_u32_e32 vcc_lo, 0x7f800000, v1
                                        ; implicit-def: $vgpr1
	s_and_saveexec_b32 s0, vcc_lo
	s_xor_b32 s0, exec_lo, s0
; %bb.50:
	v_bfe_u32 v1, v2, 16, 1
	s_delay_alu instid0(VALU_DEP_1)
	v_add3_u32 v1, v2, v1, 0x7fff
                                        ; implicit-def: $vgpr2
; %bb.51:
	s_and_not1_saveexec_b32 s0, s0
; %bb.52:
	v_and_b32_e32 v1, 0xffff, v2
	v_or_b32_e32 v3, 0x10000, v2
	s_delay_alu instid0(VALU_DEP_2) | instskip(NEXT) | instid1(VALU_DEP_2)
	v_cmp_eq_u32_e32 vcc_lo, 0, v1
	v_cndmask_b32_e32 v1, v3, v2, vcc_lo
; %bb.53:
	s_or_b32 exec_lo, exec_lo, s0
	s_load_b64 s[0:1], s[22:23], 0x4
	v_mul_f32_e32 v14, s16, v16
	v_bfe_u32 v4, v41, 10, 10
	v_bfe_u32 v3, v41, 20, 10
	v_lshrrev_b32_e32 v1, 16, v1
	s_delay_alu instid0(VALU_DEP_4) | instskip(NEXT) | instid1(VALU_DEP_1)
	v_fmac_f32_e32 v14, s11, v15
	v_and_b32_e32 v15, 0x7f800000, v14
	s_delay_alu instid0(VALU_DEP_1) | instskip(SKIP_2) | instid1(SALU_CYCLE_1)
	v_cmp_ne_u32_e32 vcc_lo, 0x7f800000, v15
                                        ; implicit-def: $vgpr15
	s_waitcnt lgkmcnt(0)
	s_lshr_b32 s0, s0, 16
	s_mul_i32 s0, s0, s1
	s_delay_alu instid0(SALU_CYCLE_1) | instskip(NEXT) | instid1(VALU_DEP_1)
	v_mul_lo_u32 v2, s0, v8
	v_mad_u32_u24 v13, v4, s1, v2
	s_delay_alu instid0(VALU_DEP_1) | instskip(SKIP_2) | instid1(SALU_CYCLE_1)
	v_add_lshl_u32 v13, v13, v3, 3
	ds_store_b16 v13, v1
	s_and_saveexec_b32 s0, vcc_lo
	s_xor_b32 s0, exec_lo, s0
; %bb.54:
	v_bfe_u32 v15, v14, 16, 1
	s_delay_alu instid0(VALU_DEP_1)
	v_add3_u32 v15, v14, v15, 0x7fff
                                        ; implicit-def: $vgpr14
; %bb.55:
	s_and_not1_saveexec_b32 s0, s0
; %bb.56:
	v_and_b32_e32 v15, 0xffff, v14
	v_or_b32_e32 v16, 0x10000, v14
	s_delay_alu instid0(VALU_DEP_2) | instskip(NEXT) | instid1(VALU_DEP_2)
	v_cmp_eq_u32_e32 vcc_lo, 0, v15
	v_cndmask_b32_e32 v15, v16, v14, vcc_lo
; %bb.57:
	s_or_b32 exec_lo, exec_lo, s0
	v_mul_f32_e32 v14, s16, v17
	s_mov_b32 s0, exec_lo
	s_delay_alu instid0(VALU_DEP_1) | instskip(SKIP_1) | instid1(VALU_DEP_2)
	v_fmac_f32_e32 v14, s11, v7
	v_lshrrev_b32_e32 v7, 16, v15
                                        ; implicit-def: $vgpr15
	v_and_b32_e32 v16, 0x7f800000, v14
	ds_store_b16 v13, v7 offset:2
	v_cmpx_ne_u32_e32 0x7f800000, v16
	s_xor_b32 s0, exec_lo, s0
; %bb.58:
	v_bfe_u32 v15, v14, 16, 1
	s_delay_alu instid0(VALU_DEP_1)
	v_add3_u32 v15, v14, v15, 0x7fff
                                        ; implicit-def: $vgpr14
; %bb.59:
	s_and_not1_saveexec_b32 s0, s0
; %bb.60:
	v_and_b32_e32 v15, 0xffff, v14
	v_or_b32_e32 v16, 0x10000, v14
	s_delay_alu instid0(VALU_DEP_2) | instskip(NEXT) | instid1(VALU_DEP_2)
	v_cmp_eq_u32_e32 vcc_lo, 0, v15
	v_cndmask_b32_e32 v15, v16, v14, vcc_lo
; %bb.61:
	s_or_b32 exec_lo, exec_lo, s0
	v_mul_f32_e32 v6, s16, v6
	s_delay_alu instid0(VALU_DEP_1) | instskip(NEXT) | instid1(VALU_DEP_3)
	v_fmac_f32_e32 v6, s11, v5
	v_lshrrev_b32_e32 v5, 16, v15
	s_delay_alu instid0(VALU_DEP_2) | instskip(SKIP_3) | instid1(SALU_CYCLE_1)
	v_and_b32_e32 v14, 0x7f800000, v6
	ds_store_b16 v13, v5 offset:4
	v_cmp_ne_u32_e32 vcc_lo, 0x7f800000, v14
                                        ; implicit-def: $vgpr14
	s_and_saveexec_b32 s0, vcc_lo
	s_xor_b32 s0, exec_lo, s0
; %bb.62:
	v_bfe_u32 v14, v6, 16, 1
	s_delay_alu instid0(VALU_DEP_1)
	v_add3_u32 v14, v6, v14, 0x7fff
                                        ; implicit-def: $vgpr6
; %bb.63:
	s_and_not1_saveexec_b32 s0, s0
; %bb.64:
	v_and_b32_e32 v14, 0xffff, v6
	v_or_b32_e32 v15, 0x10000, v6
	s_delay_alu instid0(VALU_DEP_2) | instskip(NEXT) | instid1(VALU_DEP_2)
	v_cmp_eq_u32_e32 vcc_lo, 0, v14
	v_cndmask_b32_e32 v14, v15, v6, vcc_lo
; %bb.65:
	s_or_b32 exec_lo, exec_lo, s0
	v_mul_lo_u32 v6, v0, s8
	s_delay_alu instid0(VALU_DEP_2)
	v_lshrrev_b32_e32 v0, 16, v14
	s_mov_b32 s0, exec_lo
	ds_store_b16 v13, v0 offset:6
	v_cmpx_ge_u32_e64 s4, v12
	s_xor_b32 s0, exec_lo, s0
	s_cbranch_execz .LBB61_67
; %bb.66:
	v_dual_mov_b32 v3, 0 :: v_dual_add_nc_u32 v2, s26, v11
                                        ; implicit-def: $vgpr4
	s_delay_alu instid0(VALU_DEP_1) | instskip(NEXT) | instid1(VALU_DEP_1)
	v_sub_nc_u32_e32 v2, v2, v10
	v_dual_mov_b32 v9, v3 :: v_dual_add_nc_u32 v2, v2, v6
	v_mov_b32_e32 v11, v3
                                        ; implicit-def: $vgpr6
	s_delay_alu instid0(VALU_DEP_2) | instskip(SKIP_3) | instid1(VALU_DEP_4)
	v_add_nc_u32_e32 v8, 1, v2
	v_lshlrev_b64 v[12:13], 1, v[2:3]
	v_add_nc_u32_e32 v10, 2, v2
	v_add_nc_u32_e32 v2, 3, v2
	v_lshlrev_b64 v[8:9], 1, v[8:9]
	s_delay_alu instid0(VALU_DEP_3)
	v_lshlrev_b64 v[10:11], 1, v[10:11]
	v_add_co_u32 v12, vcc_lo, s12, v12
	v_add_co_ci_u32_e32 v13, vcc_lo, s13, v13, vcc_lo
	v_lshlrev_b64 v[2:3], 1, v[2:3]
	v_add_co_u32 v8, vcc_lo, s12, v8
	v_add_co_ci_u32_e32 v9, vcc_lo, s13, v9, vcc_lo
	v_add_co_u32 v10, vcc_lo, s12, v10
	v_add_co_ci_u32_e32 v11, vcc_lo, s13, v11, vcc_lo
	;; [unrolled: 2-line block ×3, first 2 shown]
	s_clause 0x3
	global_store_b16 v[12:13], v1, off
	global_store_b16 v[8:9], v7, off
	global_store_b16 v[10:11], v5, off
	global_store_b16 v[2:3], v0, off
                                        ; implicit-def: $vgpr10
                                        ; implicit-def: $vgpr9
                                        ; implicit-def: $vgpr3
                                        ; implicit-def: $vgpr2
                                        ; implicit-def: $vgpr8
.LBB61_67:
	s_and_not1_saveexec_b32 s0, s0
	s_cbranch_execz .LBB61_71
; %bb.68:
	v_cmp_gt_u32_e32 vcc_lo, 4, v10
	s_and_b32 exec_lo, exec_lo, vcc_lo
	s_cbranch_execz .LBB61_71
; %bb.69:
	v_mul_u32_u24_e32 v0, s1, v4
	v_lshl_or_b32 v1, s21, 6, v9
	s_lshl_b32 s0, s5, 6
	v_and_b32_e32 v4, 15, v8
	s_lshl_b32 s1, s5, 7
	v_add3_u32 v0, v0, v3, v2
	v_subrev_nc_u32_e32 v2, s0, v1
	v_add3_u32 v1, s26, v6, v1
	s_delay_alu instid0(VALU_DEP_3) | instskip(NEXT) | instid1(VALU_DEP_3)
	v_add_lshl_u32 v0, v0, v4, 3
	v_add_nc_u32_e32 v3, 4, v2
	s_delay_alu instid0(VALU_DEP_2) | instskip(NEXT) | instid1(VALU_DEP_2)
	v_lshl_add_u32 v0, s21, 7, v0
	v_min_u32_e32 v3, s4, v3
	s_delay_alu instid0(VALU_DEP_2) | instskip(NEXT) | instid1(VALU_DEP_2)
	v_subrev_nc_u32_e32 v0, s1, v0
	v_lshlrev_b32_e32 v4, 1, v3
	v_sub_nc_u32_e32 v2, v2, v3
	s_mov_b32 s1, 0
	s_delay_alu instid0(VALU_DEP_2) | instskip(SKIP_1) | instid1(VALU_DEP_3)
	v_sub_nc_u32_e32 v3, v0, v4
	v_subrev_nc_u32_e32 v0, s0, v1
	v_dual_mov_b32 v1, 0 :: v_dual_add_nc_u32 v2, 3, v2
	s_delay_alu instid0(VALU_DEP_3)
	v_add_nc_u32_e32 v3, 8, v3
	.p2align	6
.LBB61_70:                              ; =>This Inner Loop Header: Depth=1
	ds_load_u16 v6, v3
	v_lshlrev_b64 v[4:5], 1, v[0:1]
	v_add_nc_u32_e32 v2, 1, v2
	v_add_nc_u32_e32 v0, 1, v0
	;; [unrolled: 1-line block ×3, first 2 shown]
	s_delay_alu instid0(VALU_DEP_3) | instskip(SKIP_1) | instid1(VALU_DEP_1)
	v_cmp_lt_u32_e32 vcc_lo, 2, v2
	v_add_co_u32 v4, s0, s12, v4
	v_add_co_ci_u32_e64 v5, s0, s13, v5, s0
	s_or_b32 s1, vcc_lo, s1
	s_waitcnt lgkmcnt(0)
	global_store_b16 v[4:5], v6, off
	s_and_not1_b32 exec_lo, exec_lo, s1
	s_cbranch_execnz .LBB61_70
.LBB61_71:
	s_endpgm
	.section	.rodata,"a",@progbits
	.p2align	6, 0x0
	.amdhsa_kernel Transform_BF16_S_010_16_16_VW_4
		.amdhsa_group_segment_fixed_size 8192
		.amdhsa_private_segment_fixed_size 64
		.amdhsa_kernarg_size 344
		.amdhsa_user_sgpr_count 14
		.amdhsa_user_sgpr_dispatch_ptr 1
		.amdhsa_user_sgpr_queue_ptr 0
		.amdhsa_user_sgpr_kernarg_segment_ptr 1
		.amdhsa_user_sgpr_dispatch_id 0
		.amdhsa_user_sgpr_private_segment_size 0
		.amdhsa_wavefront_size32 1
		.amdhsa_uses_dynamic_stack 0
		.amdhsa_enable_private_segment 1
		.amdhsa_system_sgpr_workgroup_id_x 1
		.amdhsa_system_sgpr_workgroup_id_y 0
		.amdhsa_system_sgpr_workgroup_id_z 1
		.amdhsa_system_sgpr_workgroup_info 0
		.amdhsa_system_vgpr_workitem_id 2
		.amdhsa_next_free_vgpr 42
		.amdhsa_next_free_sgpr 34
		.amdhsa_reserve_vcc 1
		.amdhsa_float_round_mode_32 0
		.amdhsa_float_round_mode_16_64 0
		.amdhsa_float_denorm_mode_32 3
		.amdhsa_float_denorm_mode_16_64 3
		.amdhsa_dx10_clamp 1
		.amdhsa_ieee_mode 1
		.amdhsa_fp16_overflow 0
		.amdhsa_workgroup_processor_mode 1
		.amdhsa_memory_ordered 1
		.amdhsa_forward_progress 0
		.amdhsa_shared_vgpr_count 0
		.amdhsa_exception_fp_ieee_invalid_op 0
		.amdhsa_exception_fp_denorm_src 0
		.amdhsa_exception_fp_ieee_div_zero 0
		.amdhsa_exception_fp_ieee_overflow 0
		.amdhsa_exception_fp_ieee_underflow 0
		.amdhsa_exception_fp_ieee_inexact 0
		.amdhsa_exception_int_div_zero 0
	.end_amdhsa_kernel
	.text
.Lfunc_end61:
	.size	Transform_BF16_S_010_16_16_VW_4, .Lfunc_end61-Transform_BF16_S_010_16_16_VW_4
                                        ; -- End function
	.section	.AMDGPU.csdata,"",@progbits
; Kernel info:
; codeLenInByte = 2308
; NumSgprs: 36
; NumVgprs: 42
; ScratchSize: 64
; MemoryBound: 0
; FloatMode: 240
; IeeeMode: 1
; LDSByteSize: 8192 bytes/workgroup (compile time only)
; SGPRBlocks: 4
; VGPRBlocks: 5
; NumSGPRsForWavesPerEU: 36
; NumVGPRsForWavesPerEU: 42
; Occupancy: 16
; WaveLimiterHint : 1
; COMPUTE_PGM_RSRC2:SCRATCH_EN: 1
; COMPUTE_PGM_RSRC2:USER_SGPR: 14
; COMPUTE_PGM_RSRC2:TRAP_HANDLER: 0
; COMPUTE_PGM_RSRC2:TGID_X_EN: 1
; COMPUTE_PGM_RSRC2:TGID_Y_EN: 0
; COMPUTE_PGM_RSRC2:TGID_Z_EN: 1
; COMPUTE_PGM_RSRC2:TIDIG_COMP_CNT: 2
	.text
	.protected	Transform_BF16_S_001_16_16_VW_1 ; -- Begin function Transform_BF16_S_001_16_16_VW_1
	.globl	Transform_BF16_S_001_16_16_VW_1
	.p2align	8
	.type	Transform_BF16_S_001_16_16_VW_1,@function
Transform_BF16_S_001_16_16_VW_1:        ; @Transform_BF16_S_001_16_16_VW_1
; %bb.0:
	s_mov_b64 s[22:23], s[0:1]
	s_load_b32 s0, s[0:1], 0x64
	v_mov_b32_e32 v41, v0
	s_mov_b32 s21, s15
	s_mov_b32 s24, s14
	;; [unrolled: 1-line block ×3, first 2 shown]
	s_waitcnt lgkmcnt(0)
	v_cmp_eq_u16_e64 s0, 0x100, s0
	s_delay_alu instid0(VALU_DEP_1)
	s_and_b32 vcc_lo, exec_lo, s0
	s_mov_b32 s0, -1
	s_cbranch_vccnz .LBB62_2
; %bb.1:
	s_add_u32 s8, s22, 0x58
	s_addc_u32 s9, s23, 0
	s_getpc_b64 s[0:1]
	s_add_u32 s0, s0, __PRETTY_FUNCTION__._ZN10amd_detail9transformI12hip_bfloat16fLb0ELb0ELb1ELj16ELj16ELj1EEEvPT_PKS2_S5_T0_PKS6_S6_S8_jjjjjjbb@rel32@lo+4
	s_addc_u32 s1, s1, __PRETTY_FUNCTION__._ZN10amd_detail9transformI12hip_bfloat16fLb0ELb0ELb1ELj16ELj16ELj1EEEvPT_PKS2_S5_T0_PKS6_S6_S8_jjjjjjbb@rel32@hi+12
	s_delay_alu instid0(SALU_CYCLE_1) | instskip(SKIP_3) | instid1(SALU_CYCLE_1)
	v_dual_mov_b32 v0, s0 :: v_dual_mov_b32 v1, s1
	s_getpc_b64 s[2:3]
	s_add_u32 s2, s2, __assert_fail@rel32@lo+4
	s_addc_u32 s3, s3, __assert_fail@rel32@hi+12
	s_swappc_b64 s[30:31], s[2:3]
	; divergent unreachable
	s_mov_b32 s0, 0
.LBB62_2:
	s_delay_alu instid0(SALU_CYCLE_1)
	s_and_not1_b32 vcc_lo, exec_lo, s0
	s_cbranch_vccnz .LBB62_18
; %bb.3:
	s_load_b256 s[0:7], s[22:23], 0x38
	s_waitcnt lgkmcnt(0)
	s_and_b32 s7, s0, 15
	s_lshr_b32 s8, s0, 4
	s_cmp_lg_u32 s7, 0
	s_cselect_b32 s7, -1, 0
	s_delay_alu instid0(SALU_CYCLE_1) | instskip(SKIP_4) | instid1(VALU_DEP_1)
	s_cmp_lg_u32 s7, 0
	s_addc_u32 s10, s8, 0
	s_load_b64 s[8:9], s[22:23], 0x20
	v_cvt_f32_u32_e32 v0, s10
	s_sub_i32 s11, 0, s10
	v_rcp_iflag_f32_e32 v0, v0
	s_waitcnt_depctr 0xfff
	v_mul_f32_e32 v0, 0x4f7ffffe, v0
	s_delay_alu instid0(VALU_DEP_1) | instskip(NEXT) | instid1(VALU_DEP_1)
	v_cvt_u32_f32_e32 v0, v0
	v_readfirstlane_b32 s7, v0
	s_delay_alu instid0(VALU_DEP_1) | instskip(NEXT) | instid1(SALU_CYCLE_1)
	s_mul_i32 s11, s11, s7
	s_mul_hi_u32 s11, s7, s11
	s_delay_alu instid0(SALU_CYCLE_1)
	s_add_i32 s7, s7, s11
	s_waitcnt lgkmcnt(0)
	s_cmp_eq_u64 s[8:9], 0
	s_mul_hi_u32 s11, s24, s7
	s_cbranch_scc1 .LBB62_6
; %bb.4:
	s_load_b32 s7, s[8:9], 0x0
	s_load_b64 s[8:9], s[22:23], 0x30
	s_waitcnt lgkmcnt(0)
	s_cmp_eq_u64 s[8:9], 0
	s_cbranch_scc1 .LBB62_7
.LBB62_5:
	s_load_b32 s12, s[8:9], 0x0
	s_branch .LBB62_8
.LBB62_6:
	s_clause 0x1
	s_load_b32 s7, s[22:23], 0x18
	s_load_b64 s[8:9], s[22:23], 0x30
	s_waitcnt lgkmcnt(0)
	s_cmp_eq_u64 s[8:9], 0
	s_cbranch_scc0 .LBB62_5
.LBB62_7:
	s_load_b32 s12, s[22:23], 0x28
.LBB62_8:
	s_mul_i32 s8, s11, s10
	s_add_i32 s9, s11, 1
	s_sub_i32 s8, s24, s8
	v_and_b32_e32 v0, 15, v41
	s_sub_i32 s13, s8, s10
	s_cmp_ge_u32 s8, s10
	v_lshrrev_b32_e32 v2, 4, v41
	s_cselect_b32 s9, s9, s11
	s_cselect_b32 s8, s13, s8
	s_add_i32 s11, s9, 1
	s_cmp_ge_u32 s8, s10
	s_cselect_b32 s8, s11, s9
	s_delay_alu instid0(SALU_CYCLE_1) | instskip(NEXT) | instid1(SALU_CYCLE_1)
	s_mul_i32 s9, s8, s10
	s_sub_i32 s9, s24, s9
	s_delay_alu instid0(SALU_CYCLE_1) | instskip(SKIP_1) | instid1(VALU_DEP_2)
	v_lshl_or_b32 v1, s9, 4, v0
	v_lshl_add_u32 v0, s8, 4, v2
	v_cmp_gt_u32_e32 vcc_lo, s0, v1
	s_delay_alu instid0(VALU_DEP_2) | instskip(NEXT) | instid1(VALU_DEP_1)
	v_cmp_gt_u32_e64 s0, s1, v0
	s_and_b32 s0, vcc_lo, s0
	s_delay_alu instid0(SALU_CYCLE_1)
	s_and_saveexec_b32 s1, s0
	s_cbranch_execz .LBB62_18
; %bb.9:
	s_clause 0x1
	s_load_b128 s[8:11], s[22:23], 0x0
	s_load_b64 s[0:1], s[22:23], 0x10
	v_dual_mov_b32 v3, 0 :: v_dual_mov_b32 v2, 0
	s_mul_i32 s21, s21, s5
	s_waitcnt lgkmcnt(0)
	s_cmp_eq_u64 s[10:11], 0
	s_cbranch_scc1 .LBB62_11
; %bb.10:
	s_bitcmp1_b32 s6, 0
	v_mov_b32_e32 v5, 0
	s_cselect_b32 vcc_lo, -1, 0
	v_cndmask_b32_e32 v2, v0, v1, vcc_lo
	v_cndmask_b32_e32 v4, v1, v0, vcc_lo
	s_delay_alu instid0(VALU_DEP_2) | instskip(NEXT) | instid1(VALU_DEP_1)
	v_mul_lo_u32 v2, v2, s2
	v_add3_u32 v4, v4, s21, v2
	s_delay_alu instid0(VALU_DEP_1) | instskip(NEXT) | instid1(VALU_DEP_1)
	v_lshlrev_b64 v[4:5], 1, v[4:5]
	v_add_co_u32 v4, vcc_lo, s10, v4
	s_delay_alu instid0(VALU_DEP_2)
	v_add_co_ci_u32_e32 v5, vcc_lo, s11, v5, vcc_lo
	global_load_u16 v2, v[4:5], off
	s_waitcnt vmcnt(0)
	v_lshlrev_b32_e32 v2, 16, v2
.LBB62_11:
	s_cmp_eq_u64 s[0:1], 0
	s_cbranch_scc1 .LBB62_13
; %bb.12:
	s_load_b32 s2, s[22:23], 0x50
	v_mov_b32_e32 v4, 0
	s_waitcnt lgkmcnt(0)
	s_bitcmp1_b32 s2, 8
	s_cselect_b32 vcc_lo, -1, 0
	v_cndmask_b32_e32 v3, v0, v1, vcc_lo
	v_cndmask_b32_e32 v5, v1, v0, vcc_lo
	s_delay_alu instid0(VALU_DEP_2) | instskip(NEXT) | instid1(VALU_DEP_1)
	v_mul_lo_u32 v3, v3, s3
	v_add3_u32 v3, v5, s21, v3
	s_delay_alu instid0(VALU_DEP_1) | instskip(NEXT) | instid1(VALU_DEP_1)
	v_lshlrev_b64 v[3:4], 1, v[3:4]
	v_add_co_u32 v3, vcc_lo, s0, v3
	s_delay_alu instid0(VALU_DEP_2)
	v_add_co_ci_u32_e32 v4, vcc_lo, s1, v4, vcc_lo
	global_load_u16 v3, v[3:4], off
	s_waitcnt vmcnt(0)
	v_lshlrev_b32_e32 v3, 16, v3
.LBB62_13:
	s_delay_alu instid0(VALU_DEP_1) | instskip(NEXT) | instid1(VALU_DEP_1)
	v_mul_f32_e32 v3, s12, v3
	v_fmac_f32_e32 v3, s7, v2
	s_delay_alu instid0(VALU_DEP_1) | instskip(NEXT) | instid1(VALU_DEP_1)
	v_and_b32_e32 v2, 0x7f800000, v3
	v_cmp_ne_u32_e32 vcc_lo, 0x7f800000, v2
                                        ; implicit-def: $vgpr2
	s_and_saveexec_b32 s0, vcc_lo
	s_delay_alu instid0(SALU_CYCLE_1)
	s_xor_b32 s0, exec_lo, s0
; %bb.14:
	v_bfe_u32 v2, v3, 16, 1
	s_delay_alu instid0(VALU_DEP_1)
	v_add3_u32 v2, v3, v2, 0x7fff
                                        ; implicit-def: $vgpr3
; %bb.15:
	s_and_not1_saveexec_b32 s0, s0
; %bb.16:
	v_and_b32_e32 v2, 0xffff, v3
	v_or_b32_e32 v4, 0x10000, v3
	s_delay_alu instid0(VALU_DEP_2) | instskip(NEXT) | instid1(VALU_DEP_2)
	v_cmp_eq_u32_e32 vcc_lo, 0, v2
	v_cndmask_b32_e32 v2, v4, v3, vcc_lo
; %bb.17:
	s_or_b32 exec_lo, exec_lo, s0
	v_mul_lo_u32 v3, v1, s4
	v_mov_b32_e32 v1, 0
	s_delay_alu instid0(VALU_DEP_2) | instskip(NEXT) | instid1(VALU_DEP_1)
	v_add3_u32 v0, v0, s21, v3
	v_lshlrev_b64 v[0:1], 1, v[0:1]
	s_delay_alu instid0(VALU_DEP_1) | instskip(NEXT) | instid1(VALU_DEP_2)
	v_add_co_u32 v0, vcc_lo, s8, v0
	v_add_co_ci_u32_e32 v1, vcc_lo, s9, v1, vcc_lo
	global_store_d16_hi_b16 v[0:1], v2, off
.LBB62_18:
	s_endpgm
	.section	.rodata,"a",@progbits
	.p2align	6, 0x0
	.amdhsa_kernel Transform_BF16_S_001_16_16_VW_1
		.amdhsa_group_segment_fixed_size 0
		.amdhsa_private_segment_fixed_size 64
		.amdhsa_kernarg_size 344
		.amdhsa_user_sgpr_count 14
		.amdhsa_user_sgpr_dispatch_ptr 0
		.amdhsa_user_sgpr_queue_ptr 0
		.amdhsa_user_sgpr_kernarg_segment_ptr 1
		.amdhsa_user_sgpr_dispatch_id 0
		.amdhsa_user_sgpr_private_segment_size 0
		.amdhsa_wavefront_size32 1
		.amdhsa_uses_dynamic_stack 0
		.amdhsa_enable_private_segment 1
		.amdhsa_system_sgpr_workgroup_id_x 1
		.amdhsa_system_sgpr_workgroup_id_y 0
		.amdhsa_system_sgpr_workgroup_id_z 1
		.amdhsa_system_sgpr_workgroup_info 0
		.amdhsa_system_vgpr_workitem_id 0
		.amdhsa_next_free_vgpr 42
		.amdhsa_next_free_sgpr 34
		.amdhsa_reserve_vcc 1
		.amdhsa_float_round_mode_32 0
		.amdhsa_float_round_mode_16_64 0
		.amdhsa_float_denorm_mode_32 3
		.amdhsa_float_denorm_mode_16_64 3
		.amdhsa_dx10_clamp 1
		.amdhsa_ieee_mode 1
		.amdhsa_fp16_overflow 0
		.amdhsa_workgroup_processor_mode 1
		.amdhsa_memory_ordered 1
		.amdhsa_forward_progress 0
		.amdhsa_shared_vgpr_count 0
		.amdhsa_exception_fp_ieee_invalid_op 0
		.amdhsa_exception_fp_denorm_src 0
		.amdhsa_exception_fp_ieee_div_zero 0
		.amdhsa_exception_fp_ieee_overflow 0
		.amdhsa_exception_fp_ieee_underflow 0
		.amdhsa_exception_fp_ieee_inexact 0
		.amdhsa_exception_int_div_zero 0
	.end_amdhsa_kernel
	.text
.Lfunc_end62:
	.size	Transform_BF16_S_001_16_16_VW_1, .Lfunc_end62-Transform_BF16_S_001_16_16_VW_1
                                        ; -- End function
	.section	.AMDGPU.csdata,"",@progbits
; Kernel info:
; codeLenInByte = 852
; NumSgprs: 36
; NumVgprs: 42
; ScratchSize: 64
; MemoryBound: 0
; FloatMode: 240
; IeeeMode: 1
; LDSByteSize: 0 bytes/workgroup (compile time only)
; SGPRBlocks: 4
; VGPRBlocks: 5
; NumSGPRsForWavesPerEU: 36
; NumVGPRsForWavesPerEU: 42
; Occupancy: 16
; WaveLimiterHint : 1
; COMPUTE_PGM_RSRC2:SCRATCH_EN: 1
; COMPUTE_PGM_RSRC2:USER_SGPR: 14
; COMPUTE_PGM_RSRC2:TRAP_HANDLER: 0
; COMPUTE_PGM_RSRC2:TGID_X_EN: 1
; COMPUTE_PGM_RSRC2:TGID_Y_EN: 0
; COMPUTE_PGM_RSRC2:TGID_Z_EN: 1
; COMPUTE_PGM_RSRC2:TIDIG_COMP_CNT: 0
	.text
	.protected	Transform_BF16_S_001_16_16_VW_4 ; -- Begin function Transform_BF16_S_001_16_16_VW_4
	.globl	Transform_BF16_S_001_16_16_VW_4
	.p2align	8
	.type	Transform_BF16_S_001_16_16_VW_4,@function
Transform_BF16_S_001_16_16_VW_4:        ; @Transform_BF16_S_001_16_16_VW_4
; %bb.0:
	s_mov_b64 s[22:23], s[0:1]
	s_load_b32 s0, s[2:3], 0x64
	v_mov_b32_e32 v41, v0
	s_mov_b32 s26, s15
	s_mov_b64 s[24:25], s[2:3]
	s_mov_b32 s21, s14
	s_mov_b32 s32, 0
	s_waitcnt lgkmcnt(0)
	v_cmp_eq_u16_e64 s0, 0x100, s0
	s_delay_alu instid0(VALU_DEP_1)
	s_and_b32 vcc_lo, exec_lo, s0
	s_mov_b32 s0, -1
	s_cbranch_vccnz .LBB63_2
; %bb.1:
	s_add_u32 s8, s24, 0x58
	s_addc_u32 s9, s25, 0
	s_getpc_b64 s[0:1]
	s_add_u32 s0, s0, __PRETTY_FUNCTION__._ZN10amd_detail9transformI12hip_bfloat16fLb0ELb0ELb1ELj16ELj16ELj4EEEvPT_PKS2_S5_T0_PKS6_S6_S8_jjjjjjbb@rel32@lo+4
	s_addc_u32 s1, s1, __PRETTY_FUNCTION__._ZN10amd_detail9transformI12hip_bfloat16fLb0ELb0ELb1ELj16ELj16ELj4EEEvPT_PKS2_S5_T0_PKS6_S6_S8_jjjjjjbb@rel32@hi+12
	s_delay_alu instid0(SALU_CYCLE_1) | instskip(SKIP_3) | instid1(SALU_CYCLE_1)
	v_dual_mov_b32 v0, s0 :: v_dual_mov_b32 v1, s1
	s_getpc_b64 s[2:3]
	s_add_u32 s2, s2, __assert_fail@rel32@lo+4
	s_addc_u32 s3, s3, __assert_fail@rel32@hi+12
	s_swappc_b64 s[30:31], s[2:3]
	; divergent unreachable
	s_mov_b32 s0, 0
.LBB63_2:
	s_delay_alu instid0(SALU_CYCLE_1)
	s_and_not1_b32 vcc_lo, exec_lo, s0
	s_cbranch_vccnz .LBB63_71
; %bb.3:
	s_load_b128 s[0:3], s[24:25], 0x38
	s_waitcnt lgkmcnt(0)
	s_and_b32 s4, s0, 15
	s_lshr_b32 s5, s0, 4
	s_cmp_lg_u32 s4, 0
	s_cselect_b32 s4, -1, 0
	s_delay_alu instid0(SALU_CYCLE_1) | instskip(SKIP_4) | instid1(VALU_DEP_1)
	s_cmp_lg_u32 s4, 0
	s_addc_u32 s6, s5, 0
	s_load_b64 s[4:5], s[24:25], 0x20
	v_cvt_f32_u32_e32 v0, s6
	s_sub_i32 s8, 0, s6
	v_rcp_iflag_f32_e32 v0, v0
	s_waitcnt_depctr 0xfff
	v_mul_f32_e32 v0, 0x4f7ffffe, v0
	s_delay_alu instid0(VALU_DEP_1) | instskip(NEXT) | instid1(VALU_DEP_1)
	v_cvt_u32_f32_e32 v0, v0
	v_readfirstlane_b32 s7, v0
	s_delay_alu instid0(VALU_DEP_1) | instskip(NEXT) | instid1(SALU_CYCLE_1)
	s_mul_i32 s8, s8, s7
	s_mul_hi_u32 s8, s7, s8
	s_delay_alu instid0(SALU_CYCLE_1)
	s_add_i32 s7, s7, s8
	s_waitcnt lgkmcnt(0)
	s_cmp_eq_u64 s[4:5], 0
	s_mul_hi_u32 s7, s21, s7
	s_cbranch_scc1 .LBB63_6
; %bb.4:
	s_load_b32 s16, s[4:5], 0x0
	s_load_b64 s[4:5], s[24:25], 0x30
	s_waitcnt lgkmcnt(0)
	s_cmp_eq_u64 s[4:5], 0
	s_cbranch_scc1 .LBB63_7
.LBB63_5:
	s_load_b32 s17, s[4:5], 0x0
	s_branch .LBB63_8
.LBB63_6:
	s_clause 0x1
	s_load_b32 s16, s[24:25], 0x18
	s_load_b64 s[4:5], s[24:25], 0x30
	s_waitcnt lgkmcnt(0)
	s_cmp_eq_u64 s[4:5], 0
	s_cbranch_scc0 .LBB63_5
.LBB63_7:
	s_load_b32 s17, s[24:25], 0x28
.LBB63_8:
	s_mul_i32 s4, s7, s6
	s_add_i32 s5, s7, 1
	s_sub_i32 s4, s21, s4
	v_and_b32_e32 v5, 0x3ff, v41
	s_sub_i32 s8, s4, s6
	s_cmp_ge_u32 s4, s6
	s_cselect_b32 s5, s5, s7
	s_cselect_b32 s4, s8, s4
	s_add_i32 s7, s5, 1
	s_cmp_ge_u32 s4, s6
	v_and_b32_e32 v6, 15, v5
	s_cselect_b32 s14, s7, s5
	s_delay_alu instid0(SALU_CYCLE_1) | instskip(NEXT) | instid1(SALU_CYCLE_1)
	s_mul_i32 s15, s14, s6
	s_sub_i32 s4, s21, s15
	s_delay_alu instid0(VALU_DEP_1) | instid1(SALU_CYCLE_1)
	v_lshl_or_b32 v1, s4, 4, v6
	s_delay_alu instid0(VALU_DEP_1)
	v_cmp_gt_u32_e32 vcc_lo, s0, v1
	s_and_saveexec_b32 s0, vcc_lo
	s_cbranch_execz .LBB63_71
; %bb.9:
	v_lshrrev_b32_e32 v0, 2, v5
	s_clause 0x1
	s_load_b128 s[8:11], s[24:25], 0x48
	s_load_b128 s[4:7], s[24:25], 0x0
	s_waitcnt lgkmcnt(0)
	s_lshl_b32 s11, s14, 6
	s_load_b64 s[12:13], s[24:25], 0x10
	v_dual_mov_b32 v10, 0 :: v_dual_and_b32 v7, 0xfc, v0
	s_delay_alu instid0(VALU_DEP_1) | instskip(NEXT) | instid1(VALU_DEP_1)
	v_dual_mov_b32 v11, 0 :: v_dual_add_nc_u32 v0, s11, v7
	v_add_nc_u32_e32 v8, 4, v0
	v_mad_u64_u32 v[2:3], null, v1, s2, v[0:1]
	s_bitcmp1_b32 s10, 0
	s_delay_alu instid0(VALU_DEP_2)
	v_sub_nc_u32_e64 v9, v8, s1 clamp
	s_cselect_b32 vcc_lo, -1, 0
	s_cmp_lg_u64 s[6:7], 0
	s_mul_i32 s26, s26, s9
	s_cselect_b32 s10, -1, 0
	v_sub_nc_u32_e32 v16, v0, v9
	v_sub_nc_u32_e32 v12, v2, v9
	s_cmp_eq_u64 s[6:7], 0
	s_cbranch_scc1 .LBB63_11
; %bb.10:
	s_delay_alu instid0(VALU_DEP_2) | instskip(NEXT) | instid1(VALU_DEP_1)
	v_mad_u64_u32 v[2:3], null, v16, s2, v[1:2]
	v_dual_mov_b32 v3, 0 :: v_dual_cndmask_b32 v2, v2, v12
	s_delay_alu instid0(VALU_DEP_1) | instskip(NEXT) | instid1(VALU_DEP_1)
	v_add_nc_u32_e32 v2, s26, v2
	v_lshlrev_b64 v[2:3], 1, v[2:3]
	s_delay_alu instid0(VALU_DEP_1) | instskip(NEXT) | instid1(VALU_DEP_1)
	v_add_co_u32 v2, s0, s6, v2
	v_add_co_ci_u32_e64 v3, s0, s7, v3, s0
	global_load_u16 v2, v[2:3], off
	s_waitcnt vmcnt(0)
	v_lshlrev_b32_e32 v11, 16, v2
.LBB63_11:
	s_load_b32 s0, s[24:25], 0x50
	v_mad_u64_u32 v[2:3], null, v1, s3, v[0:1]
	s_xor_b32 s18, vcc_lo, -1
	s_delay_alu instid0(VALU_DEP_1)
	v_sub_nc_u32_e32 v13, v2, v9
	s_waitcnt lgkmcnt(0)
	s_bitcmp1_b32 s0, 8
	s_cselect_b32 s0, -1, 0
	s_cmp_lg_u64 s[12:13], 0
	s_cselect_b32 s9, -1, 0
	s_cmp_eq_u64 s[12:13], 0
	s_cbranch_scc1 .LBB63_13
; %bb.12:
	v_mad_u64_u32 v[2:3], null, v16, s3, v[1:2]
	s_delay_alu instid0(VALU_DEP_1) | instskip(NEXT) | instid1(VALU_DEP_1)
	v_cndmask_b32_e64 v2, v2, v13, s0
	v_dual_mov_b32 v3, 0 :: v_dual_add_nc_u32 v2, s26, v2
	s_delay_alu instid0(VALU_DEP_1) | instskip(NEXT) | instid1(VALU_DEP_1)
	v_lshlrev_b64 v[2:3], 1, v[2:3]
	v_add_co_u32 v2, vcc_lo, s12, v2
	s_delay_alu instid0(VALU_DEP_2)
	v_add_co_ci_u32_e32 v3, vcc_lo, s13, v3, vcc_lo
	global_load_u16 v2, v[2:3], off
	s_waitcnt vmcnt(0)
	v_lshlrev_b32_e32 v10, 16, v2
.LBB63_13:
	v_cndmask_b32_e64 v19, 0, 1, s18
	s_and_not1_b32 vcc_lo, exec_lo, s18
	s_cbranch_vccnz .LBB63_15
; %bb.14:
	v_mul_lo_u32 v2, s2, v16
	s_delay_alu instid0(VALU_DEP_1)
	v_add3_u32 v2, v2, s2, v1
	s_xor_b32 s0, s0, -1
	s_cbranch_execz .LBB63_16
	s_branch .LBB63_17
.LBB63_15:
                                        ; implicit-def: $vgpr2
	s_xor_b32 s0, s0, -1
.LBB63_16:
	v_add_nc_u32_e32 v2, 1, v12
.LBB63_17:
	v_cndmask_b32_e64 v20, 0, 1, s0
	s_and_not1_b32 vcc_lo, exec_lo, s0
	s_cbranch_vccnz .LBB63_19
; %bb.18:
	v_mul_lo_u32 v3, s3, v16
	s_delay_alu instid0(VALU_DEP_1)
	v_add3_u32 v3, v3, s3, v1
	s_cbranch_execz .LBB63_20
	s_branch .LBB63_21
.LBB63_19:
                                        ; implicit-def: $vgpr3
.LBB63_20:
	v_add_nc_u32_e32 v3, 1, v13
.LBB63_21:
	v_cndmask_b32_e64 v21, 0, 1, s10
	v_dual_mov_b32 v15, 0 :: v_dual_mov_b32 v14, 0
	s_and_not1_b32 vcc_lo, exec_lo, s10
	s_cbranch_vccnz .LBB63_23
; %bb.22:
	v_dual_mov_b32 v18, 0 :: v_dual_add_nc_u32 v17, s26, v2
	s_delay_alu instid0(VALU_DEP_1) | instskip(NEXT) | instid1(VALU_DEP_1)
	v_lshlrev_b64 v[17:18], 1, v[17:18]
	v_add_co_u32 v17, vcc_lo, s6, v17
	s_delay_alu instid0(VALU_DEP_2)
	v_add_co_ci_u32_e32 v18, vcc_lo, s7, v18, vcc_lo
	global_load_u16 v2, v[17:18], off
	s_waitcnt vmcnt(0)
	v_lshlrev_b32_e32 v14, 16, v2
.LBB63_23:
	v_cndmask_b32_e64 v22, 0, 1, s9
	s_and_not1_b32 vcc_lo, exec_lo, s9
	s_cbranch_vccnz .LBB63_25
; %bb.24:
	v_dual_mov_b32 v3, 0 :: v_dual_add_nc_u32 v2, s26, v3
	s_delay_alu instid0(VALU_DEP_1) | instskip(NEXT) | instid1(VALU_DEP_1)
	v_lshlrev_b64 v[2:3], 1, v[2:3]
	v_add_co_u32 v2, vcc_lo, s12, v2
	s_delay_alu instid0(VALU_DEP_2)
	v_add_co_ci_u32_e32 v3, vcc_lo, s13, v3, vcc_lo
	global_load_u16 v2, v[2:3], off
	s_waitcnt vmcnt(0)
	v_lshlrev_b32_e32 v15, 16, v2
.LBB63_25:
	v_cmp_ne_u32_e32 vcc_lo, 1, v19
	v_add_nc_u32_e32 v17, 2, v16
	s_cbranch_vccnz .LBB63_27
; %bb.26:
	s_delay_alu instid0(VALU_DEP_1)
	v_mad_u64_u32 v[2:3], null, v17, s2, v[1:2]
	s_cbranch_execz .LBB63_28
	s_branch .LBB63_29
.LBB63_27:
                                        ; implicit-def: $vgpr2
.LBB63_28:
	v_add_nc_u32_e32 v2, 2, v12
.LBB63_29:
	v_cmp_ne_u32_e32 vcc_lo, 1, v20
	s_cbranch_vccnz .LBB63_31
; %bb.30:
	s_delay_alu instid0(VALU_DEP_2)
	v_mad_u64_u32 v[3:4], null, v17, s3, v[1:2]
	s_cbranch_execz .LBB63_32
	s_branch .LBB63_33
.LBB63_31:
                                        ; implicit-def: $vgpr3
.LBB63_32:
	v_add_nc_u32_e32 v3, 2, v13
.LBB63_33:
	v_cmp_ne_u32_e32 vcc_lo, 1, v21
	v_dual_mov_b32 v18, 0 :: v_dual_mov_b32 v17, 0
	s_cbranch_vccnz .LBB63_35
; %bb.34:
	v_dual_mov_b32 v24, 0 :: v_dual_add_nc_u32 v23, s26, v2
	s_delay_alu instid0(VALU_DEP_1) | instskip(NEXT) | instid1(VALU_DEP_1)
	v_lshlrev_b64 v[23:24], 1, v[23:24]
	v_add_co_u32 v23, vcc_lo, s6, v23
	s_delay_alu instid0(VALU_DEP_2)
	v_add_co_ci_u32_e32 v24, vcc_lo, s7, v24, vcc_lo
	global_load_u16 v2, v[23:24], off
	s_waitcnt vmcnt(0)
	v_lshlrev_b32_e32 v17, 16, v2
.LBB63_35:
	v_cmp_ne_u32_e32 vcc_lo, 1, v22
	s_cbranch_vccnz .LBB63_37
; %bb.36:
	v_dual_mov_b32 v3, 0 :: v_dual_add_nc_u32 v2, s26, v3
	s_delay_alu instid0(VALU_DEP_1) | instskip(NEXT) | instid1(VALU_DEP_1)
	v_lshlrev_b64 v[2:3], 1, v[2:3]
	v_add_co_u32 v2, vcc_lo, s12, v2
	s_delay_alu instid0(VALU_DEP_2)
	v_add_co_ci_u32_e32 v3, vcc_lo, s13, v3, vcc_lo
	global_load_u16 v2, v[2:3], off
	s_waitcnt vmcnt(0)
	v_lshlrev_b32_e32 v18, 16, v2
.LBB63_37:
	v_cmp_ne_u32_e32 vcc_lo, 1, v19
	v_add_nc_u32_e32 v16, 3, v16
	s_cbranch_vccnz .LBB63_39
; %bb.38:
	s_delay_alu instid0(VALU_DEP_1)
	v_mad_u64_u32 v[2:3], null, v16, s2, v[1:2]
	s_cbranch_execz .LBB63_40
	s_branch .LBB63_41
.LBB63_39:
                                        ; implicit-def: $vgpr2
.LBB63_40:
	v_add_nc_u32_e32 v2, 3, v12
.LBB63_41:
	v_cmp_ne_u32_e32 vcc_lo, 1, v20
	s_cbranch_vccnz .LBB63_43
; %bb.42:
	s_delay_alu instid0(VALU_DEP_2)
	v_mad_u64_u32 v[3:4], null, v16, s3, v[1:2]
	s_cbranch_execz .LBB63_44
	s_branch .LBB63_45
.LBB63_43:
                                        ; implicit-def: $vgpr3
.LBB63_44:
	v_add_nc_u32_e32 v3, 3, v13
.LBB63_45:
	v_cmp_ne_u32_e32 vcc_lo, 1, v21
	v_dual_mov_b32 v13, 0 :: v_dual_mov_b32 v12, 0
	s_cbranch_vccnz .LBB63_47
; %bb.46:
	v_dual_mov_b32 v20, 0 :: v_dual_add_nc_u32 v19, s26, v2
	s_delay_alu instid0(VALU_DEP_1) | instskip(NEXT) | instid1(VALU_DEP_1)
	v_lshlrev_b64 v[19:20], 1, v[19:20]
	v_add_co_u32 v19, vcc_lo, s6, v19
	s_delay_alu instid0(VALU_DEP_2)
	v_add_co_ci_u32_e32 v20, vcc_lo, s7, v20, vcc_lo
	global_load_u16 v2, v[19:20], off
	s_waitcnt vmcnt(0)
	v_lshlrev_b32_e32 v12, 16, v2
.LBB63_47:
	v_cmp_ne_u32_e32 vcc_lo, 1, v22
	s_cbranch_vccnz .LBB63_49
; %bb.48:
	v_dual_mov_b32 v3, 0 :: v_dual_add_nc_u32 v2, s26, v3
	s_delay_alu instid0(VALU_DEP_1) | instskip(NEXT) | instid1(VALU_DEP_1)
	v_lshlrev_b64 v[2:3], 1, v[2:3]
	v_add_co_u32 v2, vcc_lo, s12, v2
	s_delay_alu instid0(VALU_DEP_2)
	v_add_co_ci_u32_e32 v3, vcc_lo, s13, v3, vcc_lo
	global_load_u16 v2, v[2:3], off
	s_waitcnt vmcnt(0)
	v_lshlrev_b32_e32 v13, 16, v2
.LBB63_49:
	v_mul_f32_e32 v3, s17, v10
	s_delay_alu instid0(VALU_DEP_1) | instskip(NEXT) | instid1(VALU_DEP_1)
	v_fmac_f32_e32 v3, s16, v11
	v_and_b32_e32 v2, 0x7f800000, v3
	s_delay_alu instid0(VALU_DEP_1) | instskip(SKIP_1) | instid1(SALU_CYCLE_1)
	v_cmp_ne_u32_e32 vcc_lo, 0x7f800000, v2
                                        ; implicit-def: $vgpr2
	s_and_saveexec_b32 s0, vcc_lo
	s_xor_b32 s0, exec_lo, s0
; %bb.50:
	v_bfe_u32 v2, v3, 16, 1
	s_delay_alu instid0(VALU_DEP_1)
	v_add3_u32 v2, v3, v2, 0x7fff
                                        ; implicit-def: $vgpr3
; %bb.51:
	s_and_not1_saveexec_b32 s0, s0
; %bb.52:
	v_and_b32_e32 v2, 0xffff, v3
	v_or_b32_e32 v4, 0x10000, v3
	s_delay_alu instid0(VALU_DEP_2) | instskip(NEXT) | instid1(VALU_DEP_2)
	v_cmp_eq_u32_e32 vcc_lo, 0, v2
	v_cndmask_b32_e32 v2, v4, v3, vcc_lo
; %bb.53:
	s_or_b32 exec_lo, exec_lo, s0
	s_load_b64 s[2:3], s[22:23], 0x4
	v_mul_f32_e32 v11, s17, v15
	v_bfe_u32 v10, v41, 10, 10
	v_bfe_u32 v4, v41, 20, 10
	v_lshrrev_b32_e32 v2, 16, v2
                                        ; implicit-def: $vgpr16
	s_delay_alu instid0(VALU_DEP_4) | instskip(NEXT) | instid1(VALU_DEP_1)
	v_fmac_f32_e32 v11, s16, v14
	v_and_b32_e32 v15, 0x7f800000, v11
	s_waitcnt lgkmcnt(0)
	s_lshr_b32 s0, s2, 16
	s_delay_alu instid0(SALU_CYCLE_1) | instskip(NEXT) | instid1(SALU_CYCLE_1)
	s_mul_i32 s0, s0, s3
	v_mul_lo_u32 v3, s0, v5
	s_mov_b32 s0, exec_lo
	s_delay_alu instid0(VALU_DEP_1) | instskip(NEXT) | instid1(VALU_DEP_1)
	v_mad_u32_u24 v14, v10, s3, v3
	v_add_lshl_u32 v14, v14, v4, 3
	ds_store_b16 v14, v2
	v_cmpx_ne_u32_e32 0x7f800000, v15
	s_xor_b32 s0, exec_lo, s0
; %bb.54:
	v_bfe_u32 v15, v11, 16, 1
	s_delay_alu instid0(VALU_DEP_1)
	v_add3_u32 v16, v11, v15, 0x7fff
                                        ; implicit-def: $vgpr11
; %bb.55:
	s_and_not1_saveexec_b32 s0, s0
; %bb.56:
	v_and_b32_e32 v15, 0xffff, v11
	v_or_b32_e32 v16, 0x10000, v11
	s_delay_alu instid0(VALU_DEP_2) | instskip(NEXT) | instid1(VALU_DEP_2)
	v_cmp_eq_u32_e32 vcc_lo, 0, v15
	v_cndmask_b32_e32 v16, v16, v11, vcc_lo
; %bb.57:
	s_or_b32 exec_lo, exec_lo, s0
	v_mul_f32_e32 v15, s17, v18
	s_delay_alu instid0(VALU_DEP_2) | instskip(SKIP_1) | instid1(VALU_DEP_2)
	v_lshrrev_b32_e32 v11, 16, v16
	s_mov_b32 s0, exec_lo
                                        ; implicit-def: $vgpr16
	v_fmac_f32_e32 v15, s16, v17
	ds_store_b16 v14, v11 offset:2
	v_and_b32_e32 v17, 0x7f800000, v15
	s_delay_alu instid0(VALU_DEP_1)
	v_cmpx_ne_u32_e32 0x7f800000, v17
	s_xor_b32 s0, exec_lo, s0
; %bb.58:
	v_bfe_u32 v16, v15, 16, 1
	s_delay_alu instid0(VALU_DEP_1)
	v_add3_u32 v16, v15, v16, 0x7fff
                                        ; implicit-def: $vgpr15
; %bb.59:
	s_and_not1_saveexec_b32 s0, s0
; %bb.60:
	v_and_b32_e32 v16, 0xffff, v15
	v_or_b32_e32 v17, 0x10000, v15
	s_delay_alu instid0(VALU_DEP_2) | instskip(NEXT) | instid1(VALU_DEP_2)
	v_cmp_eq_u32_e32 vcc_lo, 0, v16
	v_cndmask_b32_e32 v16, v17, v15, vcc_lo
; %bb.61:
	s_or_b32 exec_lo, exec_lo, s0
	v_mul_f32_e32 v13, s17, v13
	s_delay_alu instid0(VALU_DEP_1) | instskip(NEXT) | instid1(VALU_DEP_3)
	v_fmac_f32_e32 v13, s16, v12
	v_lshrrev_b32_e32 v12, 16, v16
	s_delay_alu instid0(VALU_DEP_2) | instskip(SKIP_3) | instid1(SALU_CYCLE_1)
	v_and_b32_e32 v15, 0x7f800000, v13
	ds_store_b16 v14, v12 offset:4
	v_cmp_ne_u32_e32 vcc_lo, 0x7f800000, v15
                                        ; implicit-def: $vgpr15
	s_and_saveexec_b32 s0, vcc_lo
	s_xor_b32 s0, exec_lo, s0
; %bb.62:
	v_bfe_u32 v15, v13, 16, 1
	s_delay_alu instid0(VALU_DEP_1)
	v_add3_u32 v15, v13, v15, 0x7fff
                                        ; implicit-def: $vgpr13
; %bb.63:
	s_and_not1_saveexec_b32 s0, s0
; %bb.64:
	v_and_b32_e32 v15, 0xffff, v13
	v_or_b32_e32 v16, 0x10000, v13
	s_delay_alu instid0(VALU_DEP_2) | instskip(NEXT) | instid1(VALU_DEP_2)
	v_cmp_eq_u32_e32 vcc_lo, 0, v15
	v_cndmask_b32_e32 v15, v16, v13, vcc_lo
; %bb.65:
	s_or_b32 exec_lo, exec_lo, s0
	s_delay_alu instid0(VALU_DEP_1)
	v_lshrrev_b32_e32 v13, 16, v15
	s_mov_b32 s0, exec_lo
	ds_store_b16 v14, v13 offset:6
	v_cmpx_ge_u32_e64 s1, v8
	s_xor_b32 s0, exec_lo, s0
	s_cbranch_execz .LBB63_67
; %bb.66:
	v_mul_lo_u32 v1, v1, s8
                                        ; implicit-def: $vgpr10
	s_delay_alu instid0(VALU_DEP_1) | instskip(NEXT) | instid1(VALU_DEP_1)
	v_add3_u32 v0, v0, s26, v1
	v_sub_nc_u32_e32 v0, v0, v9
	v_mov_b32_e32 v1, 0
                                        ; implicit-def: $vgpr9
	s_delay_alu instid0(VALU_DEP_2) | instskip(NEXT) | instid1(VALU_DEP_2)
	v_add_nc_u32_e32 v3, 1, v0
	v_lshlrev_b64 v[7:8], 1, v[0:1]
	v_add_nc_u32_e32 v5, 2, v0
	v_add_nc_u32_e32 v0, 3, v0
	v_mov_b32_e32 v4, v1
	v_mov_b32_e32 v6, v1
	v_add_co_u32 v7, vcc_lo, s4, v7
	s_delay_alu instid0(VALU_DEP_3) | instskip(NEXT) | instid1(VALU_DEP_3)
	v_lshlrev_b64 v[3:4], 1, v[3:4]
	v_lshlrev_b64 v[5:6], 1, v[5:6]
	v_add_co_ci_u32_e32 v8, vcc_lo, s5, v8, vcc_lo
	v_lshlrev_b64 v[0:1], 1, v[0:1]
	s_delay_alu instid0(VALU_DEP_4)
	v_add_co_u32 v3, vcc_lo, s4, v3
	v_add_co_ci_u32_e32 v4, vcc_lo, s5, v4, vcc_lo
	v_add_co_u32 v5, vcc_lo, s4, v5
	v_add_co_ci_u32_e32 v6, vcc_lo, s5, v6, vcc_lo
	;; [unrolled: 2-line block ×3, first 2 shown]
	s_clause 0x3
	global_store_b16 v[7:8], v2, off
	global_store_b16 v[3:4], v11, off
	;; [unrolled: 1-line block ×4, first 2 shown]
                                        ; implicit-def: $vgpr5
                                        ; implicit-def: $vgpr6
                                        ; implicit-def: $vgpr7
                                        ; implicit-def: $vgpr0
                                        ; implicit-def: $vgpr8
                                        ; implicit-def: $vgpr4
                                        ; implicit-def: $vgpr3
.LBB63_67:
	s_and_not1_saveexec_b32 s0, s0
	s_cbranch_execz .LBB63_71
; %bb.68:
	v_cmp_gt_u32_e32 vcc_lo, 4, v9
	s_and_b32 exec_lo, exec_lo, vcc_lo
	s_cbranch_execz .LBB63_71
; %bb.69:
	v_mul_u32_u24_e32 v1, s3, v10
	v_lshrrev_b32_e32 v2, 4, v5
	s_lshl_b32 s0, s15, 4
	s_add_i32 s11, s11, s26
	s_delay_alu instid0(VALU_DEP_1) | instskip(SKIP_3) | instid1(VALU_DEP_3)
	v_add3_u32 v1, v1, v4, v2
	v_lshl_or_b32 v2, s21, 4, v6
	v_min_u32_e32 v4, s1, v8
	s_mov_b32 s1, 0
	v_add_lshl_u32 v1, v1, v3, 3
	s_delay_alu instid0(VALU_DEP_3) | instskip(NEXT) | instid1(VALU_DEP_3)
	v_subrev_nc_u32_e32 v2, s0, v2
	v_lshlrev_b32_e32 v3, 1, v4
	v_sub_nc_u32_e32 v0, v0, v4
	s_delay_alu instid0(VALU_DEP_4) | instskip(NEXT) | instid1(VALU_DEP_4)
	v_lshl_add_u32 v1, s14, 7, v1
	v_mul_lo_u32 v5, s8, v2
	s_delay_alu instid0(VALU_DEP_3) | instskip(NEXT) | instid1(VALU_DEP_3)
	v_add_nc_u32_e32 v2, 3, v0
	v_sub_nc_u32_e32 v1, v1, v3
	s_delay_alu instid0(VALU_DEP_3) | instskip(NEXT) | instid1(VALU_DEP_2)
	v_add3_u32 v0, s11, v5, v7
	v_add_nc_u32_e32 v3, 8, v1
	v_mov_b32_e32 v1, 0
	.p2align	6
.LBB63_70:                              ; =>This Inner Loop Header: Depth=1
	ds_load_u16 v6, v3
	v_lshlrev_b64 v[4:5], 1, v[0:1]
	v_add_nc_u32_e32 v2, 1, v2
	v_add_nc_u32_e32 v0, 1, v0
	;; [unrolled: 1-line block ×3, first 2 shown]
	s_delay_alu instid0(VALU_DEP_3) | instskip(SKIP_1) | instid1(VALU_DEP_1)
	v_cmp_lt_u32_e32 vcc_lo, 2, v2
	v_add_co_u32 v4, s0, s4, v4
	v_add_co_ci_u32_e64 v5, s0, s5, v5, s0
	s_or_b32 s1, vcc_lo, s1
	s_waitcnt lgkmcnt(0)
	global_store_b16 v[4:5], v6, off
	s_and_not1_b32 exec_lo, exec_lo, s1
	s_cbranch_execnz .LBB63_70
.LBB63_71:
	s_endpgm
	.section	.rodata,"a",@progbits
	.p2align	6, 0x0
	.amdhsa_kernel Transform_BF16_S_001_16_16_VW_4
		.amdhsa_group_segment_fixed_size 8192
		.amdhsa_private_segment_fixed_size 64
		.amdhsa_kernarg_size 344
		.amdhsa_user_sgpr_count 14
		.amdhsa_user_sgpr_dispatch_ptr 1
		.amdhsa_user_sgpr_queue_ptr 0
		.amdhsa_user_sgpr_kernarg_segment_ptr 1
		.amdhsa_user_sgpr_dispatch_id 0
		.amdhsa_user_sgpr_private_segment_size 0
		.amdhsa_wavefront_size32 1
		.amdhsa_uses_dynamic_stack 0
		.amdhsa_enable_private_segment 1
		.amdhsa_system_sgpr_workgroup_id_x 1
		.amdhsa_system_sgpr_workgroup_id_y 0
		.amdhsa_system_sgpr_workgroup_id_z 1
		.amdhsa_system_sgpr_workgroup_info 0
		.amdhsa_system_vgpr_workitem_id 2
		.amdhsa_next_free_vgpr 42
		.amdhsa_next_free_sgpr 34
		.amdhsa_reserve_vcc 1
		.amdhsa_float_round_mode_32 0
		.amdhsa_float_round_mode_16_64 0
		.amdhsa_float_denorm_mode_32 3
		.amdhsa_float_denorm_mode_16_64 3
		.amdhsa_dx10_clamp 1
		.amdhsa_ieee_mode 1
		.amdhsa_fp16_overflow 0
		.amdhsa_workgroup_processor_mode 1
		.amdhsa_memory_ordered 1
		.amdhsa_forward_progress 0
		.amdhsa_shared_vgpr_count 0
		.amdhsa_exception_fp_ieee_invalid_op 0
		.amdhsa_exception_fp_denorm_src 0
		.amdhsa_exception_fp_ieee_div_zero 0
		.amdhsa_exception_fp_ieee_overflow 0
		.amdhsa_exception_fp_ieee_underflow 0
		.amdhsa_exception_fp_ieee_inexact 0
		.amdhsa_exception_int_div_zero 0
	.end_amdhsa_kernel
	.text
.Lfunc_end63:
	.size	Transform_BF16_S_001_16_16_VW_4, .Lfunc_end63-Transform_BF16_S_001_16_16_VW_4
                                        ; -- End function
	.section	.AMDGPU.csdata,"",@progbits
; Kernel info:
; codeLenInByte = 2336
; NumSgprs: 36
; NumVgprs: 42
; ScratchSize: 64
; MemoryBound: 0
; FloatMode: 240
; IeeeMode: 1
; LDSByteSize: 8192 bytes/workgroup (compile time only)
; SGPRBlocks: 4
; VGPRBlocks: 5
; NumSGPRsForWavesPerEU: 36
; NumVGPRsForWavesPerEU: 42
; Occupancy: 16
; WaveLimiterHint : 1
; COMPUTE_PGM_RSRC2:SCRATCH_EN: 1
; COMPUTE_PGM_RSRC2:USER_SGPR: 14
; COMPUTE_PGM_RSRC2:TRAP_HANDLER: 0
; COMPUTE_PGM_RSRC2:TGID_X_EN: 1
; COMPUTE_PGM_RSRC2:TGID_Y_EN: 0
; COMPUTE_PGM_RSRC2:TGID_Z_EN: 1
; COMPUTE_PGM_RSRC2:TIDIG_COMP_CNT: 2
	.text
	.protected	Transform_BF16_S_000_16_16_VW_1 ; -- Begin function Transform_BF16_S_000_16_16_VW_1
	.globl	Transform_BF16_S_000_16_16_VW_1
	.p2align	8
	.type	Transform_BF16_S_000_16_16_VW_1,@function
Transform_BF16_S_000_16_16_VW_1:        ; @Transform_BF16_S_000_16_16_VW_1
; %bb.0:
	s_mov_b64 s[22:23], s[0:1]
	s_load_b32 s0, s[0:1], 0x64
	v_mov_b32_e32 v41, v0
	s_mov_b32 s21, s15
	s_mov_b32 s24, s14
	;; [unrolled: 1-line block ×3, first 2 shown]
	s_waitcnt lgkmcnt(0)
	v_cmp_eq_u16_e64 s0, 0x100, s0
	s_delay_alu instid0(VALU_DEP_1)
	s_and_b32 vcc_lo, exec_lo, s0
	s_mov_b32 s0, -1
	s_cbranch_vccnz .LBB64_2
; %bb.1:
	s_add_u32 s8, s22, 0x58
	s_addc_u32 s9, s23, 0
	s_getpc_b64 s[0:1]
	s_add_u32 s0, s0, __PRETTY_FUNCTION__._ZN10amd_detail9transformI12hip_bfloat16fLb0ELb0ELb0ELj16ELj16ELj1EEEvPT_PKS2_S5_T0_PKS6_S6_S8_jjjjjjbb@rel32@lo+4
	s_addc_u32 s1, s1, __PRETTY_FUNCTION__._ZN10amd_detail9transformI12hip_bfloat16fLb0ELb0ELb0ELj16ELj16ELj1EEEvPT_PKS2_S5_T0_PKS6_S6_S8_jjjjjjbb@rel32@hi+12
	s_delay_alu instid0(SALU_CYCLE_1) | instskip(SKIP_3) | instid1(SALU_CYCLE_1)
	v_dual_mov_b32 v0, s0 :: v_dual_mov_b32 v1, s1
	s_getpc_b64 s[2:3]
	s_add_u32 s2, s2, __assert_fail@rel32@lo+4
	s_addc_u32 s3, s3, __assert_fail@rel32@hi+12
	s_swappc_b64 s[30:31], s[2:3]
	; divergent unreachable
	s_mov_b32 s0, 0
.LBB64_2:
	s_delay_alu instid0(SALU_CYCLE_1)
	s_and_not1_b32 vcc_lo, exec_lo, s0
	s_cbranch_vccnz .LBB64_18
; %bb.3:
	s_load_b256 s[0:7], s[22:23], 0x38
	s_waitcnt lgkmcnt(0)
	s_and_b32 s7, s0, 15
	s_lshr_b32 s8, s0, 4
	s_cmp_lg_u32 s7, 0
	s_cselect_b32 s7, -1, 0
	s_delay_alu instid0(SALU_CYCLE_1) | instskip(SKIP_4) | instid1(VALU_DEP_1)
	s_cmp_lg_u32 s7, 0
	s_addc_u32 s10, s8, 0
	s_load_b64 s[8:9], s[22:23], 0x20
	v_cvt_f32_u32_e32 v0, s10
	s_sub_i32 s11, 0, s10
	v_rcp_iflag_f32_e32 v0, v0
	s_waitcnt_depctr 0xfff
	v_mul_f32_e32 v0, 0x4f7ffffe, v0
	s_delay_alu instid0(VALU_DEP_1) | instskip(NEXT) | instid1(VALU_DEP_1)
	v_cvt_u32_f32_e32 v0, v0
	v_readfirstlane_b32 s7, v0
	s_delay_alu instid0(VALU_DEP_1) | instskip(NEXT) | instid1(SALU_CYCLE_1)
	s_mul_i32 s11, s11, s7
	s_mul_hi_u32 s11, s7, s11
	s_delay_alu instid0(SALU_CYCLE_1)
	s_add_i32 s7, s7, s11
	s_waitcnt lgkmcnt(0)
	s_cmp_eq_u64 s[8:9], 0
	s_mul_hi_u32 s11, s24, s7
	s_cbranch_scc1 .LBB64_6
; %bb.4:
	s_load_b32 s7, s[8:9], 0x0
	s_load_b64 s[8:9], s[22:23], 0x30
	s_waitcnt lgkmcnt(0)
	s_cmp_eq_u64 s[8:9], 0
	s_cbranch_scc1 .LBB64_7
.LBB64_5:
	s_load_b32 s12, s[8:9], 0x0
	s_branch .LBB64_8
.LBB64_6:
	s_clause 0x1
	s_load_b32 s7, s[22:23], 0x18
	s_load_b64 s[8:9], s[22:23], 0x30
	s_waitcnt lgkmcnt(0)
	s_cmp_eq_u64 s[8:9], 0
	s_cbranch_scc0 .LBB64_5
.LBB64_7:
	s_load_b32 s12, s[22:23], 0x28
.LBB64_8:
	s_mul_i32 s8, s11, s10
	s_add_i32 s9, s11, 1
	s_sub_i32 s8, s24, s8
	v_and_b32_e32 v0, 15, v41
	s_sub_i32 s13, s8, s10
	s_cmp_ge_u32 s8, s10
	v_lshrrev_b32_e32 v1, 4, v41
	s_cselect_b32 s9, s9, s11
	s_cselect_b32 s8, s13, s8
	s_add_i32 s11, s9, 1
	s_cmp_ge_u32 s8, s10
	s_cselect_b32 s8, s11, s9
	s_delay_alu instid0(SALU_CYCLE_1) | instskip(SKIP_2) | instid1(SALU_CYCLE_1)
	s_mul_i32 s9, s8, s10
	v_lshl_add_u32 v1, s8, 4, v1
	s_sub_i32 s9, s24, s9
	v_lshl_or_b32 v0, s9, 4, v0
	s_delay_alu instid0(VALU_DEP_1) | instskip(NEXT) | instid1(VALU_DEP_3)
	v_cmp_gt_u32_e32 vcc_lo, s0, v0
	v_cmp_gt_u32_e64 s0, s1, v1
	s_delay_alu instid0(VALU_DEP_1) | instskip(NEXT) | instid1(SALU_CYCLE_1)
	s_and_b32 s0, vcc_lo, s0
	s_and_saveexec_b32 s1, s0
	s_cbranch_execz .LBB64_18
; %bb.9:
	s_clause 0x1
	s_load_b128 s[8:11], s[22:23], 0x0
	s_load_b64 s[0:1], s[22:23], 0x10
	v_dual_mov_b32 v3, 0 :: v_dual_mov_b32 v2, 0
	s_mul_i32 s21, s21, s5
	s_waitcnt lgkmcnt(0)
	s_cmp_eq_u64 s[10:11], 0
	s_cbranch_scc1 .LBB64_11
; %bb.10:
	s_bitcmp1_b32 s6, 0
	v_mov_b32_e32 v5, 0
	s_cselect_b32 vcc_lo, -1, 0
	v_cndmask_b32_e32 v2, v1, v0, vcc_lo
	v_cndmask_b32_e32 v4, v0, v1, vcc_lo
	s_delay_alu instid0(VALU_DEP_2) | instskip(NEXT) | instid1(VALU_DEP_1)
	v_mul_lo_u32 v2, v2, s2
	v_add3_u32 v4, v4, s21, v2
	s_delay_alu instid0(VALU_DEP_1) | instskip(NEXT) | instid1(VALU_DEP_1)
	v_lshlrev_b64 v[4:5], 1, v[4:5]
	v_add_co_u32 v4, vcc_lo, s10, v4
	s_delay_alu instid0(VALU_DEP_2)
	v_add_co_ci_u32_e32 v5, vcc_lo, s11, v5, vcc_lo
	global_load_u16 v2, v[4:5], off
	s_waitcnt vmcnt(0)
	v_lshlrev_b32_e32 v2, 16, v2
.LBB64_11:
	s_cmp_eq_u64 s[0:1], 0
	s_cbranch_scc1 .LBB64_13
; %bb.12:
	s_load_b32 s2, s[22:23], 0x50
	v_mov_b32_e32 v4, 0
	s_waitcnt lgkmcnt(0)
	s_bitcmp1_b32 s2, 8
	s_cselect_b32 vcc_lo, -1, 0
	v_cndmask_b32_e32 v3, v1, v0, vcc_lo
	v_cndmask_b32_e32 v5, v0, v1, vcc_lo
	s_delay_alu instid0(VALU_DEP_2) | instskip(NEXT) | instid1(VALU_DEP_1)
	v_mul_lo_u32 v3, v3, s3
	v_add3_u32 v3, v5, s21, v3
	s_delay_alu instid0(VALU_DEP_1) | instskip(NEXT) | instid1(VALU_DEP_1)
	v_lshlrev_b64 v[3:4], 1, v[3:4]
	v_add_co_u32 v3, vcc_lo, s0, v3
	s_delay_alu instid0(VALU_DEP_2)
	v_add_co_ci_u32_e32 v4, vcc_lo, s1, v4, vcc_lo
	global_load_u16 v3, v[3:4], off
	s_waitcnt vmcnt(0)
	v_lshlrev_b32_e32 v3, 16, v3
.LBB64_13:
	s_delay_alu instid0(VALU_DEP_1) | instskip(NEXT) | instid1(VALU_DEP_1)
	v_mul_f32_e32 v3, s12, v3
	v_fmac_f32_e32 v3, s7, v2
	s_delay_alu instid0(VALU_DEP_1) | instskip(NEXT) | instid1(VALU_DEP_1)
	v_and_b32_e32 v2, 0x7f800000, v3
	v_cmp_ne_u32_e32 vcc_lo, 0x7f800000, v2
                                        ; implicit-def: $vgpr2
	s_and_saveexec_b32 s0, vcc_lo
	s_delay_alu instid0(SALU_CYCLE_1)
	s_xor_b32 s0, exec_lo, s0
; %bb.14:
	v_bfe_u32 v2, v3, 16, 1
	s_delay_alu instid0(VALU_DEP_1)
	v_add3_u32 v2, v3, v2, 0x7fff
                                        ; implicit-def: $vgpr3
; %bb.15:
	s_and_not1_saveexec_b32 s0, s0
; %bb.16:
	v_and_b32_e32 v2, 0xffff, v3
	v_or_b32_e32 v4, 0x10000, v3
	s_delay_alu instid0(VALU_DEP_2) | instskip(NEXT) | instid1(VALU_DEP_2)
	v_cmp_eq_u32_e32 vcc_lo, 0, v2
	v_cndmask_b32_e32 v2, v4, v3, vcc_lo
; %bb.17:
	s_or_b32 exec_lo, exec_lo, s0
	v_mul_lo_u32 v3, v1, s4
	v_mov_b32_e32 v1, 0
	s_delay_alu instid0(VALU_DEP_2) | instskip(NEXT) | instid1(VALU_DEP_1)
	v_add3_u32 v0, v0, s21, v3
	v_lshlrev_b64 v[0:1], 1, v[0:1]
	s_delay_alu instid0(VALU_DEP_1) | instskip(NEXT) | instid1(VALU_DEP_2)
	v_add_co_u32 v0, vcc_lo, s8, v0
	v_add_co_ci_u32_e32 v1, vcc_lo, s9, v1, vcc_lo
	global_store_d16_hi_b16 v[0:1], v2, off
.LBB64_18:
	s_endpgm
	.section	.rodata,"a",@progbits
	.p2align	6, 0x0
	.amdhsa_kernel Transform_BF16_S_000_16_16_VW_1
		.amdhsa_group_segment_fixed_size 0
		.amdhsa_private_segment_fixed_size 64
		.amdhsa_kernarg_size 344
		.amdhsa_user_sgpr_count 14
		.amdhsa_user_sgpr_dispatch_ptr 0
		.amdhsa_user_sgpr_queue_ptr 0
		.amdhsa_user_sgpr_kernarg_segment_ptr 1
		.amdhsa_user_sgpr_dispatch_id 0
		.amdhsa_user_sgpr_private_segment_size 0
		.amdhsa_wavefront_size32 1
		.amdhsa_uses_dynamic_stack 0
		.amdhsa_enable_private_segment 1
		.amdhsa_system_sgpr_workgroup_id_x 1
		.amdhsa_system_sgpr_workgroup_id_y 0
		.amdhsa_system_sgpr_workgroup_id_z 1
		.amdhsa_system_sgpr_workgroup_info 0
		.amdhsa_system_vgpr_workitem_id 0
		.amdhsa_next_free_vgpr 42
		.amdhsa_next_free_sgpr 34
		.amdhsa_reserve_vcc 1
		.amdhsa_float_round_mode_32 0
		.amdhsa_float_round_mode_16_64 0
		.amdhsa_float_denorm_mode_32 3
		.amdhsa_float_denorm_mode_16_64 3
		.amdhsa_dx10_clamp 1
		.amdhsa_ieee_mode 1
		.amdhsa_fp16_overflow 0
		.amdhsa_workgroup_processor_mode 1
		.amdhsa_memory_ordered 1
		.amdhsa_forward_progress 0
		.amdhsa_shared_vgpr_count 0
		.amdhsa_exception_fp_ieee_invalid_op 0
		.amdhsa_exception_fp_denorm_src 0
		.amdhsa_exception_fp_ieee_div_zero 0
		.amdhsa_exception_fp_ieee_overflow 0
		.amdhsa_exception_fp_ieee_underflow 0
		.amdhsa_exception_fp_ieee_inexact 0
		.amdhsa_exception_int_div_zero 0
	.end_amdhsa_kernel
	.text
.Lfunc_end64:
	.size	Transform_BF16_S_000_16_16_VW_1, .Lfunc_end64-Transform_BF16_S_000_16_16_VW_1
                                        ; -- End function
	.section	.AMDGPU.csdata,"",@progbits
; Kernel info:
; codeLenInByte = 848
; NumSgprs: 36
; NumVgprs: 42
; ScratchSize: 64
; MemoryBound: 0
; FloatMode: 240
; IeeeMode: 1
; LDSByteSize: 0 bytes/workgroup (compile time only)
; SGPRBlocks: 4
; VGPRBlocks: 5
; NumSGPRsForWavesPerEU: 36
; NumVGPRsForWavesPerEU: 42
; Occupancy: 16
; WaveLimiterHint : 1
; COMPUTE_PGM_RSRC2:SCRATCH_EN: 1
; COMPUTE_PGM_RSRC2:USER_SGPR: 14
; COMPUTE_PGM_RSRC2:TRAP_HANDLER: 0
; COMPUTE_PGM_RSRC2:TGID_X_EN: 1
; COMPUTE_PGM_RSRC2:TGID_Y_EN: 0
; COMPUTE_PGM_RSRC2:TGID_Z_EN: 1
; COMPUTE_PGM_RSRC2:TIDIG_COMP_CNT: 0
	.text
	.protected	Transform_BF16_S_000_16_16_VW_4 ; -- Begin function Transform_BF16_S_000_16_16_VW_4
	.globl	Transform_BF16_S_000_16_16_VW_4
	.p2align	8
	.type	Transform_BF16_S_000_16_16_VW_4,@function
Transform_BF16_S_000_16_16_VW_4:        ; @Transform_BF16_S_000_16_16_VW_4
; %bb.0:
	s_mov_b64 s[22:23], s[0:1]
	s_load_b32 s0, s[2:3], 0x64
	v_mov_b32_e32 v41, v0
	s_mov_b32 s26, s15
	s_mov_b64 s[24:25], s[2:3]
	s_mov_b32 s21, s14
	s_mov_b32 s32, 0
	s_waitcnt lgkmcnt(0)
	v_cmp_eq_u16_e64 s0, 0x100, s0
	s_delay_alu instid0(VALU_DEP_1)
	s_and_b32 vcc_lo, exec_lo, s0
	s_mov_b32 s0, -1
	s_cbranch_vccnz .LBB65_2
; %bb.1:
	s_add_u32 s8, s24, 0x58
	s_addc_u32 s9, s25, 0
	s_getpc_b64 s[0:1]
	s_add_u32 s0, s0, __PRETTY_FUNCTION__._ZN10amd_detail9transformI12hip_bfloat16fLb0ELb0ELb0ELj16ELj16ELj4EEEvPT_PKS2_S5_T0_PKS6_S6_S8_jjjjjjbb@rel32@lo+4
	s_addc_u32 s1, s1, __PRETTY_FUNCTION__._ZN10amd_detail9transformI12hip_bfloat16fLb0ELb0ELb0ELj16ELj16ELj4EEEvPT_PKS2_S5_T0_PKS6_S6_S8_jjjjjjbb@rel32@hi+12
	s_delay_alu instid0(SALU_CYCLE_1) | instskip(SKIP_3) | instid1(SALU_CYCLE_1)
	v_dual_mov_b32 v0, s0 :: v_dual_mov_b32 v1, s1
	s_getpc_b64 s[2:3]
	s_add_u32 s2, s2, __assert_fail@rel32@lo+4
	s_addc_u32 s3, s3, __assert_fail@rel32@hi+12
	s_swappc_b64 s[30:31], s[2:3]
	; divergent unreachable
	s_mov_b32 s0, 0
.LBB65_2:
	s_delay_alu instid0(SALU_CYCLE_1)
	s_and_not1_b32 vcc_lo, exec_lo, s0
	s_cbranch_vccnz .LBB65_71
; %bb.3:
	s_load_b256 s[4:11], s[24:25], 0x38
	s_waitcnt lgkmcnt(0)
	s_and_b32 s0, s4, 63
	s_lshr_b32 s1, s4, 6
	s_cmp_lg_u32 s0, 0
	s_cselect_b32 s0, -1, 0
	s_delay_alu instid0(SALU_CYCLE_1) | instskip(SKIP_4) | instid1(VALU_DEP_1)
	s_cmp_lg_u32 s0, 0
	s_addc_u32 s2, s1, 0
	s_load_b64 s[0:1], s[24:25], 0x20
	v_cvt_f32_u32_e32 v0, s2
	s_sub_i32 s11, 0, s2
	v_rcp_iflag_f32_e32 v0, v0
	s_waitcnt_depctr 0xfff
	v_mul_f32_e32 v0, 0x4f7ffffe, v0
	s_delay_alu instid0(VALU_DEP_1) | instskip(NEXT) | instid1(VALU_DEP_1)
	v_cvt_u32_f32_e32 v0, v0
	v_readfirstlane_b32 s3, v0
	s_delay_alu instid0(VALU_DEP_1) | instskip(NEXT) | instid1(SALU_CYCLE_1)
	s_mul_i32 s11, s11, s3
	s_mul_hi_u32 s11, s3, s11
	s_delay_alu instid0(SALU_CYCLE_1)
	s_add_i32 s3, s3, s11
	s_waitcnt lgkmcnt(0)
	s_cmp_eq_u64 s[0:1], 0
	s_mul_hi_u32 s3, s21, s3
	s_cbranch_scc1 .LBB65_6
; %bb.4:
	s_load_b32 s11, s[0:1], 0x0
	s_load_b64 s[0:1], s[24:25], 0x30
	s_waitcnt lgkmcnt(0)
	s_cmp_eq_u64 s[0:1], 0
	s_cbranch_scc1 .LBB65_7
.LBB65_5:
	s_load_b32 s16, s[0:1], 0x0
	s_branch .LBB65_8
.LBB65_6:
	s_clause 0x1
	s_load_b32 s11, s[24:25], 0x18
	s_load_b64 s[0:1], s[24:25], 0x30
	s_waitcnt lgkmcnt(0)
	s_cmp_eq_u64 s[0:1], 0
	s_cbranch_scc0 .LBB65_5
.LBB65_7:
	s_load_b32 s16, s[24:25], 0x28
.LBB65_8:
	s_mul_i32 s0, s3, s2
	v_and_b32_e32 v6, 0x3ff, v41
	s_sub_i32 s0, s21, s0
	s_add_i32 s1, s3, 1
	s_sub_i32 s12, s0, s2
	s_cmp_ge_u32 s0, s2
	v_lshrrev_b32_e32 v0, 4, v6
	s_cselect_b32 s1, s1, s3
	s_cselect_b32 s0, s12, s0
	s_add_i32 s3, s1, 1
	s_cmp_ge_u32 s0, s2
	s_cselect_b32 s0, s3, s1
	s_mov_b32 s1, exec_lo
	v_lshl_add_u32 v0, s0, 4, v0
	s_delay_alu instid0(VALU_DEP_1)
	v_cmpx_gt_u32_e64 s5, v0
	s_cbranch_execz .LBB65_71
; %bb.9:
	v_dual_mov_b32 v12, 0 :: v_dual_lshlrev_b32 v1, 2, v6
	s_mul_i32 s5, s0, s2
	s_clause 0x1
	s_load_b128 s[12:15], s[24:25], 0x0
	s_load_b64 s[2:3], s[24:25], 0x10
	v_and_b32_e32 v7, 60, v1
	s_sub_i32 s0, s21, s5
	s_bitcmp1_b32 s10, 0
	s_mul_i32 s26, s26, s9
	s_cselect_b32 vcc_lo, -1, 0
	v_lshl_or_b32 v9, s0, 6, v7
	s_delay_alu instid0(VALU_DEP_1) | instskip(NEXT) | instid1(VALU_DEP_1)
	v_dual_mov_b32 v11, 0 :: v_dual_add_nc_u32 v10, 4, v9
	v_sub_nc_u32_e64 v8, v10, s4 clamp
	s_waitcnt lgkmcnt(0)
	s_cmp_lg_u64 s[14:15], 0
	s_cselect_b32 s1, -1, 0
	s_delay_alu instid0(VALU_DEP_1) | instskip(SKIP_1) | instid1(VALU_DEP_1)
	v_sub_nc_u32_e32 v1, v9, v8
	s_cmp_eq_u64 s[14:15], 0
	v_mad_u64_u32 v[2:3], null, v0, s6, v[1:2]
	s_cbranch_scc1 .LBB65_11
; %bb.10:
	v_mad_u64_u32 v[3:4], null, v1, s6, v[0:1]
	s_delay_alu instid0(VALU_DEP_1) | instskip(NEXT) | instid1(VALU_DEP_1)
	v_dual_mov_b32 v4, 0 :: v_dual_cndmask_b32 v3, v2, v3
	v_add_nc_u32_e32 v3, s26, v3
	s_delay_alu instid0(VALU_DEP_1) | instskip(NEXT) | instid1(VALU_DEP_1)
	v_lshlrev_b64 v[3:4], 1, v[3:4]
	v_add_co_u32 v3, s0, s14, v3
	s_delay_alu instid0(VALU_DEP_1)
	v_add_co_ci_u32_e64 v4, s0, s15, v4, s0
	global_load_u16 v3, v[3:4], off
	s_waitcnt vmcnt(0)
	v_lshlrev_b32_e32 v11, 16, v3
.LBB65_11:
	s_load_b32 s0, s[24:25], 0x50
	s_delay_alu instid0(VALU_DEP_1)
	v_mad_u64_u32 v[3:4], null, v0, s7, v[1:2]
	v_mul_lo_u32 v13, v1, s7
	s_xor_b32 s10, vcc_lo, -1
	s_waitcnt lgkmcnt(0)
	s_bitcmp1_b32 s0, 8
	s_cselect_b32 s0, -1, 0
	s_cmp_lg_u64 s[2:3], 0
	s_cselect_b32 s9, -1, 0
	s_cmp_eq_u64 s[2:3], 0
	s_cbranch_scc1 .LBB65_13
; %bb.12:
	v_dual_mov_b32 v5, 0 :: v_dual_add_nc_u32 v4, v13, v0
	s_delay_alu instid0(VALU_DEP_1) | instskip(NEXT) | instid1(VALU_DEP_1)
	v_cndmask_b32_e64 v4, v3, v4, s0
	v_add_nc_u32_e32 v4, s26, v4
	s_delay_alu instid0(VALU_DEP_1) | instskip(NEXT) | instid1(VALU_DEP_1)
	v_lshlrev_b64 v[4:5], 1, v[4:5]
	v_add_co_u32 v4, vcc_lo, s2, v4
	s_delay_alu instid0(VALU_DEP_2)
	v_add_co_ci_u32_e32 v5, vcc_lo, s3, v5, vcc_lo
	global_load_u16 v4, v[4:5], off
	s_waitcnt vmcnt(0)
	v_lshlrev_b32_e32 v12, 16, v4
.LBB65_13:
	v_cndmask_b32_e64 v18, 0, 1, s10
	s_and_not1_b32 vcc_lo, exec_lo, s10
	s_cbranch_vccnz .LBB65_15
; %bb.14:
	v_add_nc_u32_e32 v4, 1, v2
	s_xor_b32 s0, s0, -1
	s_cbranch_execz .LBB65_16
	s_branch .LBB65_17
.LBB65_15:
                                        ; implicit-def: $vgpr4
	s_xor_b32 s0, s0, -1
.LBB65_16:
	v_mul_lo_u32 v4, s6, v1
	s_delay_alu instid0(VALU_DEP_1)
	v_add3_u32 v4, v4, s6, v0
.LBB65_17:
	v_cndmask_b32_e64 v19, 0, 1, s0
	s_and_not1_b32 vcc_lo, exec_lo, s0
	s_cbranch_vccnz .LBB65_19
; %bb.18:
	v_add_nc_u32_e32 v5, 1, v3
	s_cbranch_execz .LBB65_20
	s_branch .LBB65_21
.LBB65_19:
                                        ; implicit-def: $vgpr5
.LBB65_20:
	v_add3_u32 v5, v13, s7, v0
.LBB65_21:
	v_cndmask_b32_e64 v20, 0, 1, s1
	v_dual_mov_b32 v15, 0 :: v_dual_mov_b32 v14, 0
	s_and_not1_b32 vcc_lo, exec_lo, s1
	s_cbranch_vccnz .LBB65_23
; %bb.22:
	v_dual_mov_b32 v17, 0 :: v_dual_add_nc_u32 v16, s26, v4
	s_delay_alu instid0(VALU_DEP_1) | instskip(NEXT) | instid1(VALU_DEP_1)
	v_lshlrev_b64 v[16:17], 1, v[16:17]
	v_add_co_u32 v16, vcc_lo, s14, v16
	s_delay_alu instid0(VALU_DEP_2)
	v_add_co_ci_u32_e32 v17, vcc_lo, s15, v17, vcc_lo
	global_load_u16 v4, v[16:17], off
	s_waitcnt vmcnt(0)
	v_lshlrev_b32_e32 v14, 16, v4
.LBB65_23:
	v_cndmask_b32_e64 v21, 0, 1, s9
	s_and_not1_b32 vcc_lo, exec_lo, s9
	s_cbranch_vccnz .LBB65_25
; %bb.24:
	v_dual_mov_b32 v5, 0 :: v_dual_add_nc_u32 v4, s26, v5
	s_delay_alu instid0(VALU_DEP_1) | instskip(NEXT) | instid1(VALU_DEP_1)
	v_lshlrev_b64 v[4:5], 1, v[4:5]
	v_add_co_u32 v4, vcc_lo, s2, v4
	s_delay_alu instid0(VALU_DEP_2)
	v_add_co_ci_u32_e32 v5, vcc_lo, s3, v5, vcc_lo
	global_load_u16 v4, v[4:5], off
	s_waitcnt vmcnt(0)
	v_lshlrev_b32_e32 v15, 16, v4
.LBB65_25:
	v_cmp_ne_u32_e32 vcc_lo, 1, v18
	s_cbranch_vccnz .LBB65_27
; %bb.26:
	v_add_nc_u32_e32 v4, 2, v2
	s_cbranch_execz .LBB65_28
	s_branch .LBB65_29
.LBB65_27:
                                        ; implicit-def: $vgpr4
.LBB65_28:
	v_add_nc_u32_e32 v16, 2, v1
	s_delay_alu instid0(VALU_DEP_1)
	v_mad_u64_u32 v[4:5], null, v16, s6, v[0:1]
.LBB65_29:
	v_cmp_ne_u32_e32 vcc_lo, 1, v19
	s_cbranch_vccnz .LBB65_31
; %bb.30:
	v_add_nc_u32_e32 v5, 2, v3
	s_cbranch_execz .LBB65_32
	s_branch .LBB65_33
.LBB65_31:
                                        ; implicit-def: $vgpr5
.LBB65_32:
	s_lshl_b32 s0, s7, 1
	s_delay_alu instid0(SALU_CYCLE_1)
	v_add3_u32 v5, v13, s0, v0
.LBB65_33:
	v_cmp_ne_u32_e32 vcc_lo, 1, v20
	v_dual_mov_b32 v17, 0 :: v_dual_mov_b32 v16, 0
	s_cbranch_vccnz .LBB65_35
; %bb.34:
	v_dual_mov_b32 v23, 0 :: v_dual_add_nc_u32 v22, s26, v4
	s_delay_alu instid0(VALU_DEP_1) | instskip(NEXT) | instid1(VALU_DEP_1)
	v_lshlrev_b64 v[22:23], 1, v[22:23]
	v_add_co_u32 v22, vcc_lo, s14, v22
	s_delay_alu instid0(VALU_DEP_2)
	v_add_co_ci_u32_e32 v23, vcc_lo, s15, v23, vcc_lo
	global_load_u16 v4, v[22:23], off
	s_waitcnt vmcnt(0)
	v_lshlrev_b32_e32 v16, 16, v4
.LBB65_35:
	v_cmp_ne_u32_e32 vcc_lo, 1, v21
	s_cbranch_vccnz .LBB65_37
; %bb.36:
	v_dual_mov_b32 v5, 0 :: v_dual_add_nc_u32 v4, s26, v5
	s_delay_alu instid0(VALU_DEP_1) | instskip(NEXT) | instid1(VALU_DEP_1)
	v_lshlrev_b64 v[4:5], 1, v[4:5]
	v_add_co_u32 v4, vcc_lo, s2, v4
	s_delay_alu instid0(VALU_DEP_2)
	v_add_co_ci_u32_e32 v5, vcc_lo, s3, v5, vcc_lo
	global_load_u16 v4, v[4:5], off
	s_waitcnt vmcnt(0)
	v_lshlrev_b32_e32 v17, 16, v4
.LBB65_37:
	v_cmp_ne_u32_e32 vcc_lo, 1, v18
	s_cbranch_vccnz .LBB65_39
; %bb.38:
	v_add_nc_u32_e32 v4, 3, v2
	s_cbranch_execz .LBB65_40
	s_branch .LBB65_41
.LBB65_39:
                                        ; implicit-def: $vgpr4
.LBB65_40:
	v_add_nc_u32_e32 v1, 3, v1
	s_delay_alu instid0(VALU_DEP_1)
	v_mad_u64_u32 v[4:5], null, v1, s6, v[0:1]
.LBB65_41:
	v_cmp_ne_u32_e32 vcc_lo, 1, v19
	s_cbranch_vccnz .LBB65_43
; %bb.42:
	v_add_nc_u32_e32 v1, 3, v3
	s_cbranch_execz .LBB65_44
	s_branch .LBB65_45
.LBB65_43:
                                        ; implicit-def: $vgpr1
.LBB65_44:
	s_mul_i32 s0, s7, 3
	s_delay_alu instid0(SALU_CYCLE_1)
	v_add3_u32 v1, v13, s0, v0
.LBB65_45:
	v_cmp_ne_u32_e32 vcc_lo, 1, v20
	v_mov_b32_e32 v13, 0
	v_mov_b32_e32 v5, 0
	s_cbranch_vccnz .LBB65_47
; %bb.46:
	v_dual_mov_b32 v3, 0 :: v_dual_add_nc_u32 v2, s26, v4
	s_delay_alu instid0(VALU_DEP_1) | instskip(NEXT) | instid1(VALU_DEP_1)
	v_lshlrev_b64 v[2:3], 1, v[2:3]
	v_add_co_u32 v2, vcc_lo, s14, v2
	s_delay_alu instid0(VALU_DEP_2)
	v_add_co_ci_u32_e32 v3, vcc_lo, s15, v3, vcc_lo
	global_load_u16 v2, v[2:3], off
	s_waitcnt vmcnt(0)
	v_lshlrev_b32_e32 v5, 16, v2
.LBB65_47:
	v_cmp_ne_u32_e32 vcc_lo, 1, v21
	s_cbranch_vccnz .LBB65_49
; %bb.48:
	v_dual_mov_b32 v2, 0 :: v_dual_add_nc_u32 v1, s26, v1
	s_delay_alu instid0(VALU_DEP_1) | instskip(NEXT) | instid1(VALU_DEP_1)
	v_lshlrev_b64 v[1:2], 1, v[1:2]
	v_add_co_u32 v1, vcc_lo, s2, v1
	s_delay_alu instid0(VALU_DEP_2)
	v_add_co_ci_u32_e32 v2, vcc_lo, s3, v2, vcc_lo
	global_load_u16 v1, v[1:2], off
	s_waitcnt vmcnt(0)
	v_lshlrev_b32_e32 v13, 16, v1
.LBB65_49:
	v_mul_f32_e32 v2, s16, v12
	s_delay_alu instid0(VALU_DEP_1) | instskip(NEXT) | instid1(VALU_DEP_1)
	v_fmac_f32_e32 v2, s11, v11
	v_and_b32_e32 v1, 0x7f800000, v2
	s_delay_alu instid0(VALU_DEP_1) | instskip(SKIP_1) | instid1(SALU_CYCLE_1)
	v_cmp_ne_u32_e32 vcc_lo, 0x7f800000, v1
                                        ; implicit-def: $vgpr1
	s_and_saveexec_b32 s0, vcc_lo
	s_xor_b32 s0, exec_lo, s0
; %bb.50:
	v_bfe_u32 v1, v2, 16, 1
	s_delay_alu instid0(VALU_DEP_1)
	v_add3_u32 v1, v2, v1, 0x7fff
                                        ; implicit-def: $vgpr2
; %bb.51:
	s_and_not1_saveexec_b32 s0, s0
; %bb.52:
	v_and_b32_e32 v1, 0xffff, v2
	v_or_b32_e32 v3, 0x10000, v2
	s_delay_alu instid0(VALU_DEP_2) | instskip(NEXT) | instid1(VALU_DEP_2)
	v_cmp_eq_u32_e32 vcc_lo, 0, v1
	v_cndmask_b32_e32 v1, v3, v2, vcc_lo
; %bb.53:
	s_or_b32 exec_lo, exec_lo, s0
	s_load_b64 s[0:1], s[22:23], 0x4
	v_mul_f32_e32 v11, s16, v15
	v_bfe_u32 v4, v41, 10, 10
	v_bfe_u32 v3, v41, 20, 10
	v_lshrrev_b32_e32 v1, 16, v1
                                        ; implicit-def: $vgpr15
	s_delay_alu instid0(VALU_DEP_4) | instskip(NEXT) | instid1(VALU_DEP_1)
	v_fmac_f32_e32 v11, s11, v14
	v_and_b32_e32 v14, 0x7f800000, v11
	s_waitcnt lgkmcnt(0)
	s_lshr_b32 s0, s0, 16
	s_delay_alu instid0(SALU_CYCLE_1) | instskip(NEXT) | instid1(SALU_CYCLE_1)
	s_mul_i32 s0, s0, s1
	v_mul_lo_u32 v2, s0, v6
	s_mov_b32 s0, exec_lo
	s_delay_alu instid0(VALU_DEP_1) | instskip(NEXT) | instid1(VALU_DEP_1)
	v_mad_u32_u24 v12, v4, s1, v2
	v_add_lshl_u32 v12, v12, v3, 3
	ds_store_b16 v12, v1
	v_cmpx_ne_u32_e32 0x7f800000, v14
	s_xor_b32 s0, exec_lo, s0
; %bb.54:
	v_bfe_u32 v14, v11, 16, 1
	s_delay_alu instid0(VALU_DEP_1)
	v_add3_u32 v15, v11, v14, 0x7fff
                                        ; implicit-def: $vgpr11
; %bb.55:
	s_and_not1_saveexec_b32 s0, s0
; %bb.56:
	v_and_b32_e32 v14, 0xffff, v11
	v_or_b32_e32 v15, 0x10000, v11
	s_delay_alu instid0(VALU_DEP_2) | instskip(NEXT) | instid1(VALU_DEP_2)
	v_cmp_eq_u32_e32 vcc_lo, 0, v14
	v_cndmask_b32_e32 v15, v15, v11, vcc_lo
; %bb.57:
	s_or_b32 exec_lo, exec_lo, s0
	v_mul_f32_e32 v14, s16, v17
	s_delay_alu instid0(VALU_DEP_2) | instskip(SKIP_1) | instid1(VALU_DEP_2)
	v_lshrrev_b32_e32 v11, 16, v15
	s_mov_b32 s0, exec_lo
                                        ; implicit-def: $vgpr15
	v_fmac_f32_e32 v14, s11, v16
	ds_store_b16 v12, v11 offset:2
	v_and_b32_e32 v16, 0x7f800000, v14
	s_delay_alu instid0(VALU_DEP_1)
	v_cmpx_ne_u32_e32 0x7f800000, v16
	s_xor_b32 s0, exec_lo, s0
; %bb.58:
	v_bfe_u32 v15, v14, 16, 1
	s_delay_alu instid0(VALU_DEP_1)
	v_add3_u32 v15, v14, v15, 0x7fff
                                        ; implicit-def: $vgpr14
; %bb.59:
	s_and_not1_saveexec_b32 s0, s0
; %bb.60:
	v_and_b32_e32 v15, 0xffff, v14
	v_or_b32_e32 v16, 0x10000, v14
	s_delay_alu instid0(VALU_DEP_2) | instskip(NEXT) | instid1(VALU_DEP_2)
	v_cmp_eq_u32_e32 vcc_lo, 0, v15
	v_cndmask_b32_e32 v15, v16, v14, vcc_lo
; %bb.61:
	s_or_b32 exec_lo, exec_lo, s0
	v_mul_f32_e32 v13, s16, v13
	s_delay_alu instid0(VALU_DEP_1) | instskip(NEXT) | instid1(VALU_DEP_3)
	v_fmac_f32_e32 v13, s11, v5
	v_lshrrev_b32_e32 v5, 16, v15
	s_delay_alu instid0(VALU_DEP_2) | instskip(SKIP_3) | instid1(SALU_CYCLE_1)
	v_and_b32_e32 v14, 0x7f800000, v13
	ds_store_b16 v12, v5 offset:4
	v_cmp_ne_u32_e32 vcc_lo, 0x7f800000, v14
                                        ; implicit-def: $vgpr14
	s_and_saveexec_b32 s0, vcc_lo
	s_xor_b32 s0, exec_lo, s0
; %bb.62:
	v_bfe_u32 v14, v13, 16, 1
	s_delay_alu instid0(VALU_DEP_1)
	v_add3_u32 v14, v13, v14, 0x7fff
                                        ; implicit-def: $vgpr13
; %bb.63:
	s_and_not1_saveexec_b32 s0, s0
; %bb.64:
	v_and_b32_e32 v14, 0xffff, v13
	v_or_b32_e32 v15, 0x10000, v13
	s_delay_alu instid0(VALU_DEP_2) | instskip(NEXT) | instid1(VALU_DEP_2)
	v_cmp_eq_u32_e32 vcc_lo, 0, v14
	v_cndmask_b32_e32 v14, v15, v13, vcc_lo
; %bb.65:
	s_or_b32 exec_lo, exec_lo, s0
	v_mul_lo_u32 v13, v0, s8
	s_delay_alu instid0(VALU_DEP_2)
	v_lshrrev_b32_e32 v0, 16, v14
	s_mov_b32 s0, exec_lo
	ds_store_b16 v12, v0 offset:6
	v_cmpx_ge_u32_e64 s4, v10
	s_xor_b32 s0, exec_lo, s0
	s_cbranch_execz .LBB65_67
; %bb.66:
	v_dual_mov_b32 v3, 0 :: v_dual_add_nc_u32 v2, s26, v9
                                        ; implicit-def: $vgpr4
	s_delay_alu instid0(VALU_DEP_1) | instskip(NEXT) | instid1(VALU_DEP_1)
	v_sub_nc_u32_e32 v2, v2, v8
	v_dual_mov_b32 v7, v3 :: v_dual_add_nc_u32 v2, v2, v13
	s_delay_alu instid0(VALU_DEP_1) | instskip(SKIP_3) | instid1(VALU_DEP_4)
	v_dual_mov_b32 v9, v3 :: v_dual_add_nc_u32 v6, 1, v2
	v_lshlrev_b64 v[12:13], 1, v[2:3]
	v_add_nc_u32_e32 v8, 2, v2
	v_add_nc_u32_e32 v2, 3, v2
	v_lshlrev_b64 v[6:7], 1, v[6:7]
	s_delay_alu instid0(VALU_DEP_3)
	v_lshlrev_b64 v[8:9], 1, v[8:9]
	v_add_co_u32 v12, vcc_lo, s12, v12
	v_add_co_ci_u32_e32 v13, vcc_lo, s13, v13, vcc_lo
	v_lshlrev_b64 v[2:3], 1, v[2:3]
	v_add_co_u32 v6, vcc_lo, s12, v6
	v_add_co_ci_u32_e32 v7, vcc_lo, s13, v7, vcc_lo
	v_add_co_u32 v8, vcc_lo, s12, v8
	v_add_co_ci_u32_e32 v9, vcc_lo, s13, v9, vcc_lo
	;; [unrolled: 2-line block ×3, first 2 shown]
	s_clause 0x3
	global_store_b16 v[12:13], v1, off
	global_store_b16 v[6:7], v11, off
	;; [unrolled: 1-line block ×4, first 2 shown]
                                        ; implicit-def: $vgpr8
                                        ; implicit-def: $vgpr7
                                        ; implicit-def: $vgpr13
                                        ; implicit-def: $vgpr3
                                        ; implicit-def: $vgpr2
                                        ; implicit-def: $vgpr6
.LBB65_67:
	s_and_not1_saveexec_b32 s0, s0
	s_cbranch_execz .LBB65_71
; %bb.68:
	v_cmp_gt_u32_e32 vcc_lo, 4, v8
	s_and_b32 exec_lo, exec_lo, vcc_lo
	s_cbranch_execz .LBB65_71
; %bb.69:
	v_mul_u32_u24_e32 v0, s1, v4
	v_lshl_or_b32 v1, s21, 6, v7
	s_lshl_b32 s0, s5, 6
	v_and_b32_e32 v4, 15, v6
	s_lshl_b32 s1, s5, 7
	v_add3_u32 v0, v0, v3, v2
	v_subrev_nc_u32_e32 v2, s0, v1
	v_add3_u32 v1, s26, v13, v1
	s_delay_alu instid0(VALU_DEP_3) | instskip(NEXT) | instid1(VALU_DEP_3)
	v_add_lshl_u32 v0, v0, v4, 3
	v_add_nc_u32_e32 v3, 4, v2
	s_delay_alu instid0(VALU_DEP_2) | instskip(NEXT) | instid1(VALU_DEP_2)
	v_lshl_add_u32 v0, s21, 7, v0
	v_min_u32_e32 v3, s4, v3
	s_delay_alu instid0(VALU_DEP_2) | instskip(NEXT) | instid1(VALU_DEP_2)
	v_subrev_nc_u32_e32 v0, s1, v0
	v_lshlrev_b32_e32 v4, 1, v3
	v_sub_nc_u32_e32 v2, v2, v3
	s_mov_b32 s1, 0
	s_delay_alu instid0(VALU_DEP_2) | instskip(SKIP_1) | instid1(VALU_DEP_3)
	v_sub_nc_u32_e32 v3, v0, v4
	v_subrev_nc_u32_e32 v0, s0, v1
	v_dual_mov_b32 v1, 0 :: v_dual_add_nc_u32 v2, 3, v2
	s_delay_alu instid0(VALU_DEP_3)
	v_add_nc_u32_e32 v3, 8, v3
	.p2align	6
.LBB65_70:                              ; =>This Inner Loop Header: Depth=1
	ds_load_u16 v6, v3
	v_lshlrev_b64 v[4:5], 1, v[0:1]
	v_add_nc_u32_e32 v2, 1, v2
	v_add_nc_u32_e32 v0, 1, v0
	;; [unrolled: 1-line block ×3, first 2 shown]
	s_delay_alu instid0(VALU_DEP_3) | instskip(SKIP_1) | instid1(VALU_DEP_1)
	v_cmp_lt_u32_e32 vcc_lo, 2, v2
	v_add_co_u32 v4, s0, s12, v4
	v_add_co_ci_u32_e64 v5, s0, s13, v5, s0
	s_or_b32 s1, vcc_lo, s1
	s_waitcnt lgkmcnt(0)
	global_store_b16 v[4:5], v6, off
	s_and_not1_b32 exec_lo, exec_lo, s1
	s_cbranch_execnz .LBB65_70
.LBB65_71:
	s_endpgm
	.section	.rodata,"a",@progbits
	.p2align	6, 0x0
	.amdhsa_kernel Transform_BF16_S_000_16_16_VW_4
		.amdhsa_group_segment_fixed_size 8192
		.amdhsa_private_segment_fixed_size 64
		.amdhsa_kernarg_size 344
		.amdhsa_user_sgpr_count 14
		.amdhsa_user_sgpr_dispatch_ptr 1
		.amdhsa_user_sgpr_queue_ptr 0
		.amdhsa_user_sgpr_kernarg_segment_ptr 1
		.amdhsa_user_sgpr_dispatch_id 0
		.amdhsa_user_sgpr_private_segment_size 0
		.amdhsa_wavefront_size32 1
		.amdhsa_uses_dynamic_stack 0
		.amdhsa_enable_private_segment 1
		.amdhsa_system_sgpr_workgroup_id_x 1
		.amdhsa_system_sgpr_workgroup_id_y 0
		.amdhsa_system_sgpr_workgroup_id_z 1
		.amdhsa_system_sgpr_workgroup_info 0
		.amdhsa_system_vgpr_workitem_id 2
		.amdhsa_next_free_vgpr 42
		.amdhsa_next_free_sgpr 34
		.amdhsa_reserve_vcc 1
		.amdhsa_float_round_mode_32 0
		.amdhsa_float_round_mode_16_64 0
		.amdhsa_float_denorm_mode_32 3
		.amdhsa_float_denorm_mode_16_64 3
		.amdhsa_dx10_clamp 1
		.amdhsa_ieee_mode 1
		.amdhsa_fp16_overflow 0
		.amdhsa_workgroup_processor_mode 1
		.amdhsa_memory_ordered 1
		.amdhsa_forward_progress 0
		.amdhsa_shared_vgpr_count 0
		.amdhsa_exception_fp_ieee_invalid_op 0
		.amdhsa_exception_fp_denorm_src 0
		.amdhsa_exception_fp_ieee_div_zero 0
		.amdhsa_exception_fp_ieee_overflow 0
		.amdhsa_exception_fp_ieee_underflow 0
		.amdhsa_exception_fp_ieee_inexact 0
		.amdhsa_exception_int_div_zero 0
	.end_amdhsa_kernel
	.text
.Lfunc_end65:
	.size	Transform_BF16_S_000_16_16_VW_4, .Lfunc_end65-Transform_BF16_S_000_16_16_VW_4
                                        ; -- End function
	.section	.AMDGPU.csdata,"",@progbits
; Kernel info:
; codeLenInByte = 2312
; NumSgprs: 36
; NumVgprs: 42
; ScratchSize: 64
; MemoryBound: 0
; FloatMode: 240
; IeeeMode: 1
; LDSByteSize: 8192 bytes/workgroup (compile time only)
; SGPRBlocks: 4
; VGPRBlocks: 5
; NumSGPRsForWavesPerEU: 36
; NumVGPRsForWavesPerEU: 42
; Occupancy: 16
; WaveLimiterHint : 1
; COMPUTE_PGM_RSRC2:SCRATCH_EN: 1
; COMPUTE_PGM_RSRC2:USER_SGPR: 14
; COMPUTE_PGM_RSRC2:TRAP_HANDLER: 0
; COMPUTE_PGM_RSRC2:TGID_X_EN: 1
; COMPUTE_PGM_RSRC2:TGID_Y_EN: 0
; COMPUTE_PGM_RSRC2:TGID_Z_EN: 1
; COMPUTE_PGM_RSRC2:TIDIG_COMP_CNT: 2
	.text
	.protected	Transform_I8_S_111_16_16_VW_1 ; -- Begin function Transform_I8_S_111_16_16_VW_1
	.globl	Transform_I8_S_111_16_16_VW_1
	.p2align	8
	.type	Transform_I8_S_111_16_16_VW_1,@function
Transform_I8_S_111_16_16_VW_1:          ; @Transform_I8_S_111_16_16_VW_1
; %bb.0:
	s_mov_b64 s[22:23], s[0:1]
	s_load_b32 s0, s[0:1], 0x64
	v_mov_b32_e32 v41, v0
	s_mov_b32 s21, s15
	s_mov_b32 s24, s14
	;; [unrolled: 1-line block ×3, first 2 shown]
	s_waitcnt lgkmcnt(0)
	v_cmp_eq_u16_e64 s0, 0x100, s0
	s_delay_alu instid0(VALU_DEP_1)
	s_and_b32 vcc_lo, exec_lo, s0
	s_mov_b32 s0, -1
	s_cbranch_vccnz .LBB66_2
; %bb.1:
	s_add_u32 s8, s22, 0x58
	s_addc_u32 s9, s23, 0
	s_getpc_b64 s[0:1]
	s_add_u32 s0, s0, __PRETTY_FUNCTION__._ZN10amd_detail9transformIafLb1ELb1ELb1ELj16ELj16ELj1EEEvPT_PKS1_S4_T0_PKS5_S5_S7_jjjjjjbb@rel32@lo+4
	s_addc_u32 s1, s1, __PRETTY_FUNCTION__._ZN10amd_detail9transformIafLb1ELb1ELb1ELj16ELj16ELj1EEEvPT_PKS1_S4_T0_PKS5_S5_S7_jjjjjjbb@rel32@hi+12
	s_delay_alu instid0(SALU_CYCLE_1) | instskip(SKIP_3) | instid1(SALU_CYCLE_1)
	v_dual_mov_b32 v0, s0 :: v_dual_mov_b32 v1, s1
	s_getpc_b64 s[2:3]
	s_add_u32 s2, s2, __assert_fail@rel32@lo+4
	s_addc_u32 s3, s3, __assert_fail@rel32@hi+12
	s_swappc_b64 s[30:31], s[2:3]
	; divergent unreachable
	s_mov_b32 s0, 0
.LBB66_2:
	s_delay_alu instid0(SALU_CYCLE_1)
	s_and_not1_b32 vcc_lo, exec_lo, s0
	s_cbranch_vccnz .LBB66_14
; %bb.3:
	s_load_b256 s[0:7], s[22:23], 0x38
	s_waitcnt lgkmcnt(0)
	s_and_b32 s7, s0, 15
	s_lshr_b32 s8, s0, 4
	s_cmp_lg_u32 s7, 0
	s_cselect_b32 s7, -1, 0
	s_delay_alu instid0(SALU_CYCLE_1) | instskip(SKIP_4) | instid1(VALU_DEP_1)
	s_cmp_lg_u32 s7, 0
	s_addc_u32 s10, s8, 0
	s_load_b64 s[8:9], s[22:23], 0x20
	v_cvt_f32_u32_e32 v0, s10
	s_sub_i32 s11, 0, s10
	v_rcp_iflag_f32_e32 v0, v0
	s_waitcnt_depctr 0xfff
	v_mul_f32_e32 v0, 0x4f7ffffe, v0
	s_delay_alu instid0(VALU_DEP_1) | instskip(NEXT) | instid1(VALU_DEP_1)
	v_cvt_u32_f32_e32 v0, v0
	v_readfirstlane_b32 s7, v0
	s_delay_alu instid0(VALU_DEP_1) | instskip(NEXT) | instid1(SALU_CYCLE_1)
	s_mul_i32 s11, s11, s7
	s_mul_hi_u32 s11, s7, s11
	s_delay_alu instid0(SALU_CYCLE_1)
	s_add_i32 s7, s7, s11
	s_waitcnt lgkmcnt(0)
	s_cmp_eq_u64 s[8:9], 0
	s_mul_hi_u32 s11, s24, s7
	s_cbranch_scc1 .LBB66_6
; %bb.4:
	s_load_b32 s7, s[8:9], 0x0
	s_load_b64 s[8:9], s[22:23], 0x30
	s_waitcnt lgkmcnt(0)
	s_cmp_eq_u64 s[8:9], 0
	s_cbranch_scc1 .LBB66_7
.LBB66_5:
	s_load_b32 s12, s[8:9], 0x0
	s_branch .LBB66_8
.LBB66_6:
	s_clause 0x1
	s_load_b32 s7, s[22:23], 0x18
	s_load_b64 s[8:9], s[22:23], 0x30
	s_waitcnt lgkmcnt(0)
	s_cmp_eq_u64 s[8:9], 0
	s_cbranch_scc0 .LBB66_5
.LBB66_7:
	s_load_b32 s12, s[22:23], 0x28
.LBB66_8:
	s_mul_i32 s8, s11, s10
	s_add_i32 s9, s11, 1
	s_sub_i32 s8, s24, s8
	v_and_b32_e32 v0, 15, v41
	s_sub_i32 s13, s8, s10
	s_cmp_ge_u32 s8, s10
	v_lshrrev_b32_e32 v2, 4, v41
	s_cselect_b32 s9, s9, s11
	s_cselect_b32 s8, s13, s8
	s_add_i32 s11, s9, 1
	s_cmp_ge_u32 s8, s10
	s_cselect_b32 s8, s11, s9
	s_delay_alu instid0(SALU_CYCLE_1) | instskip(NEXT) | instid1(SALU_CYCLE_1)
	s_mul_i32 s9, s8, s10
	s_sub_i32 s9, s24, s9
	s_delay_alu instid0(SALU_CYCLE_1) | instskip(SKIP_1) | instid1(VALU_DEP_2)
	v_lshl_or_b32 v1, s9, 4, v0
	v_lshl_add_u32 v0, s8, 4, v2
	v_cmp_gt_u32_e32 vcc_lo, s0, v1
	s_delay_alu instid0(VALU_DEP_2) | instskip(NEXT) | instid1(VALU_DEP_1)
	v_cmp_gt_u32_e64 s0, s1, v0
	s_and_b32 s0, vcc_lo, s0
	s_delay_alu instid0(SALU_CYCLE_1)
	s_and_saveexec_b32 s1, s0
	s_cbranch_execz .LBB66_14
; %bb.9:
	s_clause 0x1
	s_load_b128 s[8:11], s[22:23], 0x0
	s_load_b64 s[0:1], s[22:23], 0x10
	v_dual_mov_b32 v3, 0 :: v_dual_mov_b32 v2, 0
	s_mul_i32 s21, s21, s5
	s_waitcnt lgkmcnt(0)
	s_cmp_eq_u64 s[10:11], 0
	s_cbranch_scc1 .LBB66_11
; %bb.10:
	s_bitcmp1_b32 s6, 0
	s_cselect_b32 vcc_lo, -1, 0
	v_cndmask_b32_e32 v2, v1, v0, vcc_lo
	v_cndmask_b32_e32 v4, v0, v1, vcc_lo
	s_delay_alu instid0(VALU_DEP_2) | instskip(NEXT) | instid1(VALU_DEP_1)
	v_mul_lo_u32 v2, v2, s2
	v_add3_u32 v2, v4, s21, v2
	global_load_i8 v2, v2, s[10:11]
	s_waitcnt vmcnt(0)
	v_cvt_f32_i32_e32 v2, v2
.LBB66_11:
	s_cmp_eq_u64 s[0:1], 0
	s_cbranch_scc1 .LBB66_13
; %bb.12:
	s_load_b32 s2, s[22:23], 0x50
	s_waitcnt lgkmcnt(0)
	s_bitcmp1_b32 s2, 8
	s_cselect_b32 vcc_lo, -1, 0
	v_dual_cndmask_b32 v3, v1, v0 :: v_dual_cndmask_b32 v4, v0, v1
	s_delay_alu instid0(VALU_DEP_1) | instskip(NEXT) | instid1(VALU_DEP_1)
	v_mul_lo_u32 v3, v3, s3
	v_add3_u32 v3, v4, s21, v3
	global_load_i8 v3, v3, s[0:1]
	s_waitcnt vmcnt(0)
	v_cvt_f32_i32_e32 v3, v3
.LBB66_13:
	s_delay_alu instid0(VALU_DEP_1) | instskip(SKIP_1) | instid1(VALU_DEP_2)
	v_mul_f32_e32 v3, s12, v3
	v_mul_lo_u32 v1, v1, s4
	v_fmac_f32_e32 v3, s7, v2
	s_delay_alu instid0(VALU_DEP_2) | instskip(NEXT) | instid1(VALU_DEP_2)
	v_add3_u32 v0, v0, s21, v1
	v_cvt_i32_f32_e32 v2, v3
	global_store_b8 v0, v2, s[8:9]
.LBB66_14:
	s_endpgm
	.section	.rodata,"a",@progbits
	.p2align	6, 0x0
	.amdhsa_kernel Transform_I8_S_111_16_16_VW_1
		.amdhsa_group_segment_fixed_size 0
		.amdhsa_private_segment_fixed_size 64
		.amdhsa_kernarg_size 344
		.amdhsa_user_sgpr_count 14
		.amdhsa_user_sgpr_dispatch_ptr 0
		.amdhsa_user_sgpr_queue_ptr 0
		.amdhsa_user_sgpr_kernarg_segment_ptr 1
		.amdhsa_user_sgpr_dispatch_id 0
		.amdhsa_user_sgpr_private_segment_size 0
		.amdhsa_wavefront_size32 1
		.amdhsa_uses_dynamic_stack 0
		.amdhsa_enable_private_segment 1
		.amdhsa_system_sgpr_workgroup_id_x 1
		.amdhsa_system_sgpr_workgroup_id_y 0
		.amdhsa_system_sgpr_workgroup_id_z 1
		.amdhsa_system_sgpr_workgroup_info 0
		.amdhsa_system_vgpr_workitem_id 0
		.amdhsa_next_free_vgpr 42
		.amdhsa_next_free_sgpr 34
		.amdhsa_reserve_vcc 1
		.amdhsa_float_round_mode_32 0
		.amdhsa_float_round_mode_16_64 0
		.amdhsa_float_denorm_mode_32 3
		.amdhsa_float_denorm_mode_16_64 3
		.amdhsa_dx10_clamp 1
		.amdhsa_ieee_mode 1
		.amdhsa_fp16_overflow 0
		.amdhsa_workgroup_processor_mode 1
		.amdhsa_memory_ordered 1
		.amdhsa_forward_progress 0
		.amdhsa_shared_vgpr_count 0
		.amdhsa_exception_fp_ieee_invalid_op 0
		.amdhsa_exception_fp_denorm_src 0
		.amdhsa_exception_fp_ieee_div_zero 0
		.amdhsa_exception_fp_ieee_overflow 0
		.amdhsa_exception_fp_ieee_underflow 0
		.amdhsa_exception_fp_ieee_inexact 0
		.amdhsa_exception_int_div_zero 0
	.end_amdhsa_kernel
	.text
.Lfunc_end66:
	.size	Transform_I8_S_111_16_16_VW_1, .Lfunc_end66-Transform_I8_S_111_16_16_VW_1
                                        ; -- End function
	.section	.AMDGPU.csdata,"",@progbits
; Kernel info:
; codeLenInByte = 672
; NumSgprs: 36
; NumVgprs: 42
; ScratchSize: 64
; MemoryBound: 0
; FloatMode: 240
; IeeeMode: 1
; LDSByteSize: 0 bytes/workgroup (compile time only)
; SGPRBlocks: 4
; VGPRBlocks: 5
; NumSGPRsForWavesPerEU: 36
; NumVGPRsForWavesPerEU: 42
; Occupancy: 16
; WaveLimiterHint : 1
; COMPUTE_PGM_RSRC2:SCRATCH_EN: 1
; COMPUTE_PGM_RSRC2:USER_SGPR: 14
; COMPUTE_PGM_RSRC2:TRAP_HANDLER: 0
; COMPUTE_PGM_RSRC2:TGID_X_EN: 1
; COMPUTE_PGM_RSRC2:TGID_Y_EN: 0
; COMPUTE_PGM_RSRC2:TGID_Z_EN: 1
; COMPUTE_PGM_RSRC2:TIDIG_COMP_CNT: 0
	.text
	.protected	Transform_I8_S_111_16_16_VW_4 ; -- Begin function Transform_I8_S_111_16_16_VW_4
	.globl	Transform_I8_S_111_16_16_VW_4
	.p2align	8
	.type	Transform_I8_S_111_16_16_VW_4,@function
Transform_I8_S_111_16_16_VW_4:          ; @Transform_I8_S_111_16_16_VW_4
; %bb.0:
	s_mov_b64 s[22:23], s[0:1]
	s_load_b32 s0, s[0:1], 0x64
	v_mov_b32_e32 v41, v0
	s_mov_b32 s24, s15
	s_mov_b32 s21, s14
	s_mov_b32 s32, 0
	s_waitcnt lgkmcnt(0)
	v_cmp_eq_u16_e64 s0, 0x100, s0
	s_delay_alu instid0(VALU_DEP_1)
	s_and_b32 vcc_lo, exec_lo, s0
	s_mov_b32 s0, -1
	s_cbranch_vccnz .LBB67_2
; %bb.1:
	s_add_u32 s8, s22, 0x58
	s_addc_u32 s9, s23, 0
	s_getpc_b64 s[0:1]
	s_add_u32 s0, s0, __PRETTY_FUNCTION__._ZN10amd_detail9transformIafLb1ELb1ELb1ELj16ELj16ELj4EEEvPT_PKS1_S4_T0_PKS5_S5_S7_jjjjjjbb@rel32@lo+4
	s_addc_u32 s1, s1, __PRETTY_FUNCTION__._ZN10amd_detail9transformIafLb1ELb1ELb1ELj16ELj16ELj4EEEvPT_PKS1_S4_T0_PKS5_S5_S7_jjjjjjbb@rel32@hi+12
	s_delay_alu instid0(SALU_CYCLE_1) | instskip(SKIP_3) | instid1(SALU_CYCLE_1)
	v_dual_mov_b32 v0, s0 :: v_dual_mov_b32 v1, s1
	s_getpc_b64 s[2:3]
	s_add_u32 s2, s2, __assert_fail@rel32@lo+4
	s_addc_u32 s3, s3, __assert_fail@rel32@hi+12
	s_swappc_b64 s[30:31], s[2:3]
	; divergent unreachable
	s_mov_b32 s0, 0
.LBB67_2:
	s_delay_alu instid0(SALU_CYCLE_1)
	s_and_not1_b32 vcc_lo, exec_lo, s0
	s_cbranch_vccnz .LBB67_55
; %bb.3:
	s_load_b128 s[0:3], s[22:23], 0x38
	s_waitcnt lgkmcnt(0)
	s_and_b32 s4, s0, 15
	s_lshr_b32 s5, s0, 4
	s_cmp_lg_u32 s4, 0
	s_cselect_b32 s4, -1, 0
	s_delay_alu instid0(SALU_CYCLE_1) | instskip(SKIP_4) | instid1(VALU_DEP_1)
	s_cmp_lg_u32 s4, 0
	s_addc_u32 s6, s5, 0
	s_load_b64 s[4:5], s[22:23], 0x20
	v_cvt_f32_u32_e32 v0, s6
	s_sub_i32 s8, 0, s6
	v_rcp_iflag_f32_e32 v0, v0
	s_waitcnt_depctr 0xfff
	v_mul_f32_e32 v0, 0x4f7ffffe, v0
	s_delay_alu instid0(VALU_DEP_1) | instskip(NEXT) | instid1(VALU_DEP_1)
	v_cvt_u32_f32_e32 v0, v0
	v_readfirstlane_b32 s7, v0
	s_delay_alu instid0(VALU_DEP_1) | instskip(NEXT) | instid1(SALU_CYCLE_1)
	s_mul_i32 s8, s8, s7
	s_mul_hi_u32 s8, s7, s8
	s_delay_alu instid0(SALU_CYCLE_1)
	s_add_i32 s7, s7, s8
	s_waitcnt lgkmcnt(0)
	s_cmp_eq_u64 s[4:5], 0
	s_mul_hi_u32 s7, s21, s7
	s_cbranch_scc1 .LBB67_6
; %bb.4:
	s_load_b32 s15, s[4:5], 0x0
	s_load_b64 s[4:5], s[22:23], 0x30
	s_waitcnt lgkmcnt(0)
	s_cmp_eq_u64 s[4:5], 0
	s_cbranch_scc1 .LBB67_7
.LBB67_5:
	s_load_b32 s16, s[4:5], 0x0
	s_branch .LBB67_8
.LBB67_6:
	s_clause 0x1
	s_load_b32 s15, s[22:23], 0x18
	s_load_b64 s[4:5], s[22:23], 0x30
	s_waitcnt lgkmcnt(0)
	s_cmp_eq_u64 s[4:5], 0
	s_cbranch_scc0 .LBB67_5
.LBB67_7:
	s_load_b32 s16, s[22:23], 0x28
.LBB67_8:
	s_mul_i32 s4, s7, s6
	s_add_i32 s5, s7, 1
	s_sub_i32 s4, s21, s4
	v_and_b32_e32 v4, 15, v41
	s_sub_i32 s8, s4, s6
	s_cmp_ge_u32 s4, s6
	s_cselect_b32 s5, s5, s7
	s_cselect_b32 s4, s8, s4
	s_add_i32 s7, s5, 1
	s_cmp_ge_u32 s4, s6
	s_cselect_b32 s12, s7, s5
	s_delay_alu instid0(SALU_CYCLE_1) | instskip(NEXT) | instid1(SALU_CYCLE_1)
	s_mul_i32 s14, s12, s6
	s_sub_i32 s4, s21, s14
	s_delay_alu instid0(SALU_CYCLE_1) | instskip(NEXT) | instid1(VALU_DEP_1)
	v_lshl_or_b32 v1, s4, 4, v4
	v_cmp_gt_u32_e32 vcc_lo, s0, v1
	s_and_saveexec_b32 s0, vcc_lo
	s_cbranch_execz .LBB67_55
; %bb.9:
	v_lshrrev_b32_e32 v0, 2, v41
	s_clause 0x1
	s_load_b128 s[8:11], s[22:23], 0x48
	s_load_b128 s[4:7], s[22:23], 0x0
	s_waitcnt lgkmcnt(0)
	s_lshl_b32 s11, s12, 6
	s_load_b64 s[12:13], s[22:23], 0x10
	v_dual_mov_b32 v8, 0 :: v_dual_and_b32 v5, 0xfc, v0
	s_delay_alu instid0(VALU_DEP_1) | instskip(NEXT) | instid1(VALU_DEP_1)
	v_dual_mov_b32 v9, 0 :: v_dual_add_nc_u32 v0, s11, v5
	v_add_nc_u32_e32 v6, 4, v0
	v_mad_u64_u32 v[2:3], null, v1, s2, v[0:1]
	s_bitcmp1_b32 s10, 0
	s_delay_alu instid0(VALU_DEP_2) | instskip(SKIP_4) | instid1(VALU_DEP_2)
	v_sub_nc_u32_e64 v7, v6, s1 clamp
	s_cselect_b32 vcc_lo, -1, 0
	s_cmp_lg_u64 s[6:7], 0
	s_mul_i32 s24, s24, s9
	s_cselect_b32 s10, -1, 0
	v_sub_nc_u32_e32 v12, v2, v7
	v_sub_nc_u32_e32 v10, v0, v7
	s_cmp_eq_u64 s[6:7], 0
	s_cbranch_scc1 .LBB67_11
; %bb.10:
	s_delay_alu instid0(VALU_DEP_1) | instskip(NEXT) | instid1(VALU_DEP_1)
	v_mad_u64_u32 v[2:3], null, v10, s2, v[1:2]
	v_cndmask_b32_e32 v2, v12, v2, vcc_lo
	s_delay_alu instid0(VALU_DEP_1)
	v_add_nc_u32_e32 v2, s24, v2
	global_load_i8 v2, v2, s[6:7]
	s_waitcnt vmcnt(0)
	v_cvt_f32_i32_e32 v8, v2
.LBB67_11:
	s_load_b32 s0, s[22:23], 0x50
	v_mad_u64_u32 v[2:3], null, v1, s3, v[0:1]
	v_mul_lo_u32 v11, v10, s3
	s_xor_b32 s17, vcc_lo, -1
	s_delay_alu instid0(VALU_DEP_2)
	v_sub_nc_u32_e32 v13, v2, v7
	s_waitcnt lgkmcnt(0)
	s_bitcmp1_b32 s0, 8
	s_cselect_b32 s0, -1, 0
	s_cmp_lg_u64 s[12:13], 0
	s_cselect_b32 s9, -1, 0
	s_cmp_eq_u64 s[12:13], 0
	s_cbranch_scc1 .LBB67_13
; %bb.12:
	v_add_nc_u32_e32 v2, v11, v1
	s_delay_alu instid0(VALU_DEP_1) | instskip(NEXT) | instid1(VALU_DEP_1)
	v_cndmask_b32_e64 v2, v13, v2, s0
	v_add_nc_u32_e32 v2, s24, v2
	global_load_i8 v2, v2, s[12:13]
	s_waitcnt vmcnt(0)
	v_cvt_f32_i32_e32 v9, v2
.LBB67_13:
	v_cndmask_b32_e64 v16, 0, 1, s17
	s_and_not1_b32 vcc_lo, exec_lo, s17
	s_cbranch_vccnz .LBB67_15
; %bb.14:
	v_add_nc_u32_e32 v2, 1, v12
	s_xor_b32 s0, s0, -1
	s_cbranch_execz .LBB67_16
	s_branch .LBB67_17
.LBB67_15:
                                        ; implicit-def: $vgpr2
	s_xor_b32 s0, s0, -1
.LBB67_16:
	v_mul_lo_u32 v2, s2, v10
	s_delay_alu instid0(VALU_DEP_1)
	v_add3_u32 v2, v2, s2, v1
.LBB67_17:
	v_cndmask_b32_e64 v17, 0, 1, s0
	s_and_not1_b32 vcc_lo, exec_lo, s0
	s_cbranch_vccnz .LBB67_19
; %bb.18:
	v_add_nc_u32_e32 v3, 1, v13
	s_cbranch_execz .LBB67_20
	s_branch .LBB67_21
.LBB67_19:
                                        ; implicit-def: $vgpr3
.LBB67_20:
	v_add3_u32 v3, v11, s3, v1
.LBB67_21:
	v_cndmask_b32_e64 v18, 0, 1, s10
	v_dual_mov_b32 v15, 0 :: v_dual_mov_b32 v14, 0
	s_and_not1_b32 vcc_lo, exec_lo, s10
	s_cbranch_vccnz .LBB67_23
; %bb.22:
	v_add_nc_u32_e32 v2, s24, v2
	global_load_i8 v2, v2, s[6:7]
	s_waitcnt vmcnt(0)
	v_cvt_f32_i32_e32 v14, v2
.LBB67_23:
	v_cndmask_b32_e64 v19, 0, 1, s9
	s_and_not1_b32 vcc_lo, exec_lo, s9
	s_cbranch_vccnz .LBB67_25
; %bb.24:
	v_add_nc_u32_e32 v2, s24, v3
	global_load_i8 v2, v2, s[12:13]
	s_waitcnt vmcnt(0)
	v_cvt_f32_i32_e32 v15, v2
.LBB67_25:
	v_cmp_ne_u32_e32 vcc_lo, 1, v16
	s_cbranch_vccnz .LBB67_27
; %bb.26:
	v_add_nc_u32_e32 v2, 2, v12
	s_cbranch_execz .LBB67_28
	s_branch .LBB67_29
.LBB67_27:
                                        ; implicit-def: $vgpr2
.LBB67_28:
	v_add_nc_u32_e32 v20, 2, v10
	s_delay_alu instid0(VALU_DEP_1)
	v_mad_u64_u32 v[2:3], null, v20, s2, v[1:2]
.LBB67_29:
	v_cmp_ne_u32_e32 vcc_lo, 1, v17
	s_cbranch_vccnz .LBB67_31
; %bb.30:
	v_add_nc_u32_e32 v3, 2, v13
	s_cbranch_execz .LBB67_32
	s_branch .LBB67_33
.LBB67_31:
                                        ; implicit-def: $vgpr3
.LBB67_32:
	s_lshl_b32 s0, s3, 1
	s_delay_alu instid0(SALU_CYCLE_1)
	v_add3_u32 v3, v11, s0, v1
.LBB67_33:
	v_cmp_ne_u32_e32 vcc_lo, 1, v18
	v_dual_mov_b32 v21, 0 :: v_dual_mov_b32 v20, 0
	s_cbranch_vccnz .LBB67_35
; %bb.34:
	v_add_nc_u32_e32 v2, s24, v2
	global_load_i8 v2, v2, s[6:7]
	s_waitcnt vmcnt(0)
	v_cvt_f32_i32_e32 v20, v2
.LBB67_35:
	v_cmp_ne_u32_e32 vcc_lo, 1, v19
	s_cbranch_vccnz .LBB67_37
; %bb.36:
	v_add_nc_u32_e32 v2, s24, v3
	global_load_i8 v2, v2, s[12:13]
	s_waitcnt vmcnt(0)
	v_cvt_f32_i32_e32 v21, v2
.LBB67_37:
	v_cmp_ne_u32_e32 vcc_lo, 1, v16
	s_cbranch_vccnz .LBB67_39
; %bb.38:
	v_add_nc_u32_e32 v2, 3, v12
	s_cbranch_execz .LBB67_40
	s_branch .LBB67_41
.LBB67_39:
                                        ; implicit-def: $vgpr2
.LBB67_40:
	v_add_nc_u32_e32 v10, 3, v10
	s_delay_alu instid0(VALU_DEP_1)
	v_mad_u64_u32 v[2:3], null, v10, s2, v[1:2]
.LBB67_41:
	v_cmp_ne_u32_e32 vcc_lo, 1, v17
	s_cbranch_vccnz .LBB67_43
; %bb.42:
	v_add_nc_u32_e32 v10, 3, v13
	s_cbranch_execz .LBB67_44
	s_branch .LBB67_45
.LBB67_43:
                                        ; implicit-def: $vgpr10
.LBB67_44:
	s_mul_i32 s0, s3, 3
	s_delay_alu instid0(SALU_CYCLE_1)
	v_add3_u32 v10, v11, s0, v1
.LBB67_45:
	v_cmp_ne_u32_e32 vcc_lo, 1, v18
	v_mov_b32_e32 v11, 0
	v_mov_b32_e32 v3, 0
	s_cbranch_vccnz .LBB67_47
; %bb.46:
	v_add_nc_u32_e32 v2, s24, v2
	global_load_i8 v2, v2, s[6:7]
	s_waitcnt vmcnt(0)
	v_cvt_f32_i32_e32 v3, v2
.LBB67_47:
	v_cmp_ne_u32_e32 vcc_lo, 1, v19
	s_cbranch_vccnz .LBB67_49
; %bb.48:
	v_add_nc_u32_e32 v2, s24, v10
	global_load_i8 v2, v2, s[12:13]
	s_waitcnt vmcnt(0)
	v_cvt_f32_i32_e32 v11, v2
.LBB67_49:
	v_dual_mul_f32 v2, s16, v9 :: v_dual_mul_f32 v9, s16, v15
	s_delay_alu instid0(VALU_DEP_2) | instskip(SKIP_1) | instid1(VALU_DEP_2)
	v_dual_mul_f32 v10, s16, v21 :: v_dual_mul_f32 v11, s16, v11
	s_mov_b32 s0, exec_lo
	v_dual_fmac_f32 v2, s15, v8 :: v_dual_fmac_f32 v9, s15, v14
	s_delay_alu instid0(VALU_DEP_2) | instskip(NEXT) | instid1(VALU_DEP_2)
	v_dual_fmac_f32 v10, s15, v20 :: v_dual_fmac_f32 v11, s15, v3
	v_cvt_i32_f32_e32 v3, v2
	s_delay_alu instid0(VALU_DEP_3) | instskip(NEXT) | instid1(VALU_DEP_3)
	v_cvt_i32_f32_e32 v9, v9
	v_cvt_i32_f32_e32 v2, v10
	s_delay_alu instid0(VALU_DEP_4)
	v_cvt_i32_f32_e32 v8, v11
	v_cmpx_ge_u32_e64 s1, v6
	s_xor_b32 s0, exec_lo, s0
; %bb.50:
	v_mul_lo_u32 v1, v1, s8
                                        ; implicit-def: $vgpr6
	s_delay_alu instid0(VALU_DEP_1) | instskip(NEXT) | instid1(VALU_DEP_1)
	v_add3_u32 v0, v0, s24, v1
	v_sub_nc_u32_e32 v0, v0, v7
                                        ; implicit-def: $vgpr7
	s_delay_alu instid0(VALU_DEP_1)
	v_add_nc_u32_e32 v1, 1, v0
	v_add_nc_u32_e32 v4, 2, v0
	;; [unrolled: 1-line block ×3, first 2 shown]
	s_clause 0x3
	global_store_b8 v0, v3, s[4:5]
	global_store_b8 v1, v9, s[4:5]
	;; [unrolled: 1-line block ×4, first 2 shown]
                                        ; implicit-def: $vgpr4
                                        ; implicit-def: $vgpr5
                                        ; implicit-def: $vgpr0
                                        ; implicit-def: $vgpr3
                                        ; implicit-def: $vgpr9
                                        ; implicit-def: $vgpr2
                                        ; implicit-def: $vgpr8
; %bb.51:
	s_and_not1_saveexec_b32 s0, s0
	s_cbranch_execz .LBB67_55
; %bb.52:
	v_cmp_gt_u32_e32 vcc_lo, 4, v7
	s_and_b32 exec_lo, exec_lo, vcc_lo
	s_cbranch_execz .LBB67_55
; %bb.53:
	v_lshlrev_b16 v1, 8, v9
	v_and_b32_e32 v3, 0xff, v3
	v_lshl_or_b32 v4, s21, 4, v4
	v_lshlrev_b16 v7, 8, v8
	v_and_b32_e32 v2, 0xff, v2
	s_lshl_b32 s0, s14, 4
	v_or_b32_e32 v1, v3, v1
	v_subrev_nc_u32_e32 v3, s0, v4
	v_min_u32_e32 v4, s1, v6
	v_or_b32_e32 v2, v2, v7
	s_add_i32 s11, s11, s24
	v_and_b32_e32 v1, 0xffff, v1
	v_mul_lo_u32 v3, s8, v3
	v_sub_nc_u32_e32 v4, v0, v4
	v_lshlrev_b32_e32 v2, 16, v2
	s_mov_b32 s0, 0
	s_delay_alu instid0(VALU_DEP_1) | instskip(NEXT) | instid1(VALU_DEP_3)
	v_or_b32_e32 v0, v1, v2
	v_add_nc_u32_e32 v1, 3, v4
	v_add3_u32 v2, s11, v3, v5
.LBB67_54:                              ; =>This Inner Loop Header: Depth=1
	s_delay_alu instid0(VALU_DEP_2) | instskip(NEXT) | instid1(VALU_DEP_1)
	v_add_nc_u32_e32 v1, 1, v1
	v_lshlrev_b32_e32 v3, 3, v1
	v_cmp_lt_u32_e32 vcc_lo, 2, v1
	s_delay_alu instid0(VALU_DEP_2)
	v_lshrrev_b32_e32 v3, v3, v0
	s_or_b32 s0, vcc_lo, s0
	global_store_b8 v2, v3, s[4:5]
	v_add_nc_u32_e32 v2, 1, v2
	s_and_not1_b32 exec_lo, exec_lo, s0
	s_cbranch_execnz .LBB67_54
.LBB67_55:
	s_endpgm
	.section	.rodata,"a",@progbits
	.p2align	6, 0x0
	.amdhsa_kernel Transform_I8_S_111_16_16_VW_4
		.amdhsa_group_segment_fixed_size 0
		.amdhsa_private_segment_fixed_size 64
		.amdhsa_kernarg_size 344
		.amdhsa_user_sgpr_count 14
		.amdhsa_user_sgpr_dispatch_ptr 0
		.amdhsa_user_sgpr_queue_ptr 0
		.amdhsa_user_sgpr_kernarg_segment_ptr 1
		.amdhsa_user_sgpr_dispatch_id 0
		.amdhsa_user_sgpr_private_segment_size 0
		.amdhsa_wavefront_size32 1
		.amdhsa_uses_dynamic_stack 0
		.amdhsa_enable_private_segment 1
		.amdhsa_system_sgpr_workgroup_id_x 1
		.amdhsa_system_sgpr_workgroup_id_y 0
		.amdhsa_system_sgpr_workgroup_id_z 1
		.amdhsa_system_sgpr_workgroup_info 0
		.amdhsa_system_vgpr_workitem_id 0
		.amdhsa_next_free_vgpr 42
		.amdhsa_next_free_sgpr 34
		.amdhsa_reserve_vcc 1
		.amdhsa_float_round_mode_32 0
		.amdhsa_float_round_mode_16_64 0
		.amdhsa_float_denorm_mode_32 3
		.amdhsa_float_denorm_mode_16_64 3
		.amdhsa_dx10_clamp 1
		.amdhsa_ieee_mode 1
		.amdhsa_fp16_overflow 0
		.amdhsa_workgroup_processor_mode 1
		.amdhsa_memory_ordered 1
		.amdhsa_forward_progress 0
		.amdhsa_shared_vgpr_count 0
		.amdhsa_exception_fp_ieee_invalid_op 0
		.amdhsa_exception_fp_denorm_src 0
		.amdhsa_exception_fp_ieee_div_zero 0
		.amdhsa_exception_fp_ieee_overflow 0
		.amdhsa_exception_fp_ieee_underflow 0
		.amdhsa_exception_fp_ieee_inexact 0
		.amdhsa_exception_int_div_zero 0
	.end_amdhsa_kernel
	.text
.Lfunc_end67:
	.size	Transform_I8_S_111_16_16_VW_4, .Lfunc_end67-Transform_I8_S_111_16_16_VW_4
                                        ; -- End function
	.section	.AMDGPU.csdata,"",@progbits
; Kernel info:
; codeLenInByte = 1472
; NumSgprs: 36
; NumVgprs: 42
; ScratchSize: 64
; MemoryBound: 0
; FloatMode: 240
; IeeeMode: 1
; LDSByteSize: 0 bytes/workgroup (compile time only)
; SGPRBlocks: 4
; VGPRBlocks: 5
; NumSGPRsForWavesPerEU: 36
; NumVGPRsForWavesPerEU: 42
; Occupancy: 16
; WaveLimiterHint : 1
; COMPUTE_PGM_RSRC2:SCRATCH_EN: 1
; COMPUTE_PGM_RSRC2:USER_SGPR: 14
; COMPUTE_PGM_RSRC2:TRAP_HANDLER: 0
; COMPUTE_PGM_RSRC2:TGID_X_EN: 1
; COMPUTE_PGM_RSRC2:TGID_Y_EN: 0
; COMPUTE_PGM_RSRC2:TGID_Z_EN: 1
; COMPUTE_PGM_RSRC2:TIDIG_COMP_CNT: 0
	.text
	.protected	Transform_I8_S_110_16_16_VW_1 ; -- Begin function Transform_I8_S_110_16_16_VW_1
	.globl	Transform_I8_S_110_16_16_VW_1
	.p2align	8
	.type	Transform_I8_S_110_16_16_VW_1,@function
Transform_I8_S_110_16_16_VW_1:          ; @Transform_I8_S_110_16_16_VW_1
; %bb.0:
	s_mov_b64 s[22:23], s[0:1]
	s_load_b32 s0, s[0:1], 0x64
	v_mov_b32_e32 v41, v0
	s_mov_b32 s21, s15
	s_mov_b32 s24, s14
	;; [unrolled: 1-line block ×3, first 2 shown]
	s_waitcnt lgkmcnt(0)
	v_cmp_eq_u16_e64 s0, 0x100, s0
	s_delay_alu instid0(VALU_DEP_1)
	s_and_b32 vcc_lo, exec_lo, s0
	s_mov_b32 s0, -1
	s_cbranch_vccnz .LBB68_2
; %bb.1:
	s_add_u32 s8, s22, 0x58
	s_addc_u32 s9, s23, 0
	s_getpc_b64 s[0:1]
	s_add_u32 s0, s0, __PRETTY_FUNCTION__._ZN10amd_detail9transformIafLb1ELb1ELb0ELj16ELj16ELj1EEEvPT_PKS1_S4_T0_PKS5_S5_S7_jjjjjjbb@rel32@lo+4
	s_addc_u32 s1, s1, __PRETTY_FUNCTION__._ZN10amd_detail9transformIafLb1ELb1ELb0ELj16ELj16ELj1EEEvPT_PKS1_S4_T0_PKS5_S5_S7_jjjjjjbb@rel32@hi+12
	s_delay_alu instid0(SALU_CYCLE_1) | instskip(SKIP_3) | instid1(SALU_CYCLE_1)
	v_dual_mov_b32 v0, s0 :: v_dual_mov_b32 v1, s1
	s_getpc_b64 s[2:3]
	s_add_u32 s2, s2, __assert_fail@rel32@lo+4
	s_addc_u32 s3, s3, __assert_fail@rel32@hi+12
	s_swappc_b64 s[30:31], s[2:3]
	; divergent unreachable
	s_mov_b32 s0, 0
.LBB68_2:
	s_delay_alu instid0(SALU_CYCLE_1)
	s_and_not1_b32 vcc_lo, exec_lo, s0
	s_cbranch_vccnz .LBB68_14
; %bb.3:
	s_load_b256 s[0:7], s[22:23], 0x38
	s_waitcnt lgkmcnt(0)
	s_and_b32 s7, s0, 15
	s_lshr_b32 s8, s0, 4
	s_cmp_lg_u32 s7, 0
	s_cselect_b32 s7, -1, 0
	s_delay_alu instid0(SALU_CYCLE_1) | instskip(SKIP_4) | instid1(VALU_DEP_1)
	s_cmp_lg_u32 s7, 0
	s_addc_u32 s10, s8, 0
	s_load_b64 s[8:9], s[22:23], 0x20
	v_cvt_f32_u32_e32 v0, s10
	s_sub_i32 s11, 0, s10
	v_rcp_iflag_f32_e32 v0, v0
	s_waitcnt_depctr 0xfff
	v_mul_f32_e32 v0, 0x4f7ffffe, v0
	s_delay_alu instid0(VALU_DEP_1) | instskip(NEXT) | instid1(VALU_DEP_1)
	v_cvt_u32_f32_e32 v0, v0
	v_readfirstlane_b32 s7, v0
	s_delay_alu instid0(VALU_DEP_1) | instskip(NEXT) | instid1(SALU_CYCLE_1)
	s_mul_i32 s11, s11, s7
	s_mul_hi_u32 s11, s7, s11
	s_delay_alu instid0(SALU_CYCLE_1)
	s_add_i32 s7, s7, s11
	s_waitcnt lgkmcnt(0)
	s_cmp_eq_u64 s[8:9], 0
	s_mul_hi_u32 s11, s24, s7
	s_cbranch_scc1 .LBB68_6
; %bb.4:
	s_load_b32 s7, s[8:9], 0x0
	s_load_b64 s[8:9], s[22:23], 0x30
	s_waitcnt lgkmcnt(0)
	s_cmp_eq_u64 s[8:9], 0
	s_cbranch_scc1 .LBB68_7
.LBB68_5:
	s_load_b32 s12, s[8:9], 0x0
	s_branch .LBB68_8
.LBB68_6:
	s_clause 0x1
	s_load_b32 s7, s[22:23], 0x18
	s_load_b64 s[8:9], s[22:23], 0x30
	s_waitcnt lgkmcnt(0)
	s_cmp_eq_u64 s[8:9], 0
	s_cbranch_scc0 .LBB68_5
.LBB68_7:
	s_load_b32 s12, s[22:23], 0x28
.LBB68_8:
	s_mul_i32 s8, s11, s10
	s_add_i32 s9, s11, 1
	s_sub_i32 s8, s24, s8
	v_and_b32_e32 v0, 15, v41
	s_sub_i32 s13, s8, s10
	s_cmp_ge_u32 s8, s10
	v_lshrrev_b32_e32 v1, 4, v41
	s_cselect_b32 s9, s9, s11
	s_cselect_b32 s8, s13, s8
	s_add_i32 s11, s9, 1
	s_cmp_ge_u32 s8, s10
	s_cselect_b32 s8, s11, s9
	s_delay_alu instid0(SALU_CYCLE_1) | instskip(SKIP_2) | instid1(SALU_CYCLE_1)
	s_mul_i32 s9, s8, s10
	v_lshl_add_u32 v1, s8, 4, v1
	s_sub_i32 s9, s24, s9
	v_lshl_or_b32 v0, s9, 4, v0
	s_delay_alu instid0(VALU_DEP_1) | instskip(NEXT) | instid1(VALU_DEP_3)
	v_cmp_gt_u32_e32 vcc_lo, s0, v0
	v_cmp_gt_u32_e64 s0, s1, v1
	s_delay_alu instid0(VALU_DEP_1) | instskip(NEXT) | instid1(SALU_CYCLE_1)
	s_and_b32 s0, vcc_lo, s0
	s_and_saveexec_b32 s1, s0
	s_cbranch_execz .LBB68_14
; %bb.9:
	s_clause 0x1
	s_load_b128 s[8:11], s[22:23], 0x0
	s_load_b64 s[0:1], s[22:23], 0x10
	v_dual_mov_b32 v3, 0 :: v_dual_mov_b32 v2, 0
	s_mul_i32 s21, s21, s5
	s_waitcnt lgkmcnt(0)
	s_cmp_eq_u64 s[10:11], 0
	s_cbranch_scc1 .LBB68_11
; %bb.10:
	s_bitcmp1_b32 s6, 0
	s_cselect_b32 vcc_lo, -1, 0
	v_cndmask_b32_e32 v2, v0, v1, vcc_lo
	v_cndmask_b32_e32 v4, v1, v0, vcc_lo
	s_delay_alu instid0(VALU_DEP_2) | instskip(NEXT) | instid1(VALU_DEP_1)
	v_mul_lo_u32 v2, v2, s2
	v_add3_u32 v2, v4, s21, v2
	global_load_i8 v2, v2, s[10:11]
	s_waitcnt vmcnt(0)
	v_cvt_f32_i32_e32 v2, v2
.LBB68_11:
	s_cmp_eq_u64 s[0:1], 0
	s_cbranch_scc1 .LBB68_13
; %bb.12:
	s_load_b32 s2, s[22:23], 0x50
	s_waitcnt lgkmcnt(0)
	s_bitcmp1_b32 s2, 8
	s_cselect_b32 vcc_lo, -1, 0
	v_dual_cndmask_b32 v3, v0, v1 :: v_dual_cndmask_b32 v4, v1, v0
	s_delay_alu instid0(VALU_DEP_1) | instskip(NEXT) | instid1(VALU_DEP_1)
	v_mul_lo_u32 v3, v3, s3
	v_add3_u32 v3, v4, s21, v3
	global_load_i8 v3, v3, s[0:1]
	s_waitcnt vmcnt(0)
	v_cvt_f32_i32_e32 v3, v3
.LBB68_13:
	s_delay_alu instid0(VALU_DEP_1) | instskip(SKIP_1) | instid1(VALU_DEP_2)
	v_mul_f32_e32 v3, s12, v3
	v_mul_lo_u32 v1, v1, s4
	v_fmac_f32_e32 v3, s7, v2
	s_delay_alu instid0(VALU_DEP_2) | instskip(NEXT) | instid1(VALU_DEP_2)
	v_add3_u32 v0, v0, s21, v1
	v_cvt_i32_f32_e32 v2, v3
	global_store_b8 v0, v2, s[8:9]
.LBB68_14:
	s_endpgm
	.section	.rodata,"a",@progbits
	.p2align	6, 0x0
	.amdhsa_kernel Transform_I8_S_110_16_16_VW_1
		.amdhsa_group_segment_fixed_size 0
		.amdhsa_private_segment_fixed_size 64
		.amdhsa_kernarg_size 344
		.amdhsa_user_sgpr_count 14
		.amdhsa_user_sgpr_dispatch_ptr 0
		.amdhsa_user_sgpr_queue_ptr 0
		.amdhsa_user_sgpr_kernarg_segment_ptr 1
		.amdhsa_user_sgpr_dispatch_id 0
		.amdhsa_user_sgpr_private_segment_size 0
		.amdhsa_wavefront_size32 1
		.amdhsa_uses_dynamic_stack 0
		.amdhsa_enable_private_segment 1
		.amdhsa_system_sgpr_workgroup_id_x 1
		.amdhsa_system_sgpr_workgroup_id_y 0
		.amdhsa_system_sgpr_workgroup_id_z 1
		.amdhsa_system_sgpr_workgroup_info 0
		.amdhsa_system_vgpr_workitem_id 0
		.amdhsa_next_free_vgpr 42
		.amdhsa_next_free_sgpr 34
		.amdhsa_reserve_vcc 1
		.amdhsa_float_round_mode_32 0
		.amdhsa_float_round_mode_16_64 0
		.amdhsa_float_denorm_mode_32 3
		.amdhsa_float_denorm_mode_16_64 3
		.amdhsa_dx10_clamp 1
		.amdhsa_ieee_mode 1
		.amdhsa_fp16_overflow 0
		.amdhsa_workgroup_processor_mode 1
		.amdhsa_memory_ordered 1
		.amdhsa_forward_progress 0
		.amdhsa_shared_vgpr_count 0
		.amdhsa_exception_fp_ieee_invalid_op 0
		.amdhsa_exception_fp_denorm_src 0
		.amdhsa_exception_fp_ieee_div_zero 0
		.amdhsa_exception_fp_ieee_overflow 0
		.amdhsa_exception_fp_ieee_underflow 0
		.amdhsa_exception_fp_ieee_inexact 0
		.amdhsa_exception_int_div_zero 0
	.end_amdhsa_kernel
	.text
.Lfunc_end68:
	.size	Transform_I8_S_110_16_16_VW_1, .Lfunc_end68-Transform_I8_S_110_16_16_VW_1
                                        ; -- End function
	.section	.AMDGPU.csdata,"",@progbits
; Kernel info:
; codeLenInByte = 668
; NumSgprs: 36
; NumVgprs: 42
; ScratchSize: 64
; MemoryBound: 0
; FloatMode: 240
; IeeeMode: 1
; LDSByteSize: 0 bytes/workgroup (compile time only)
; SGPRBlocks: 4
; VGPRBlocks: 5
; NumSGPRsForWavesPerEU: 36
; NumVGPRsForWavesPerEU: 42
; Occupancy: 16
; WaveLimiterHint : 1
; COMPUTE_PGM_RSRC2:SCRATCH_EN: 1
; COMPUTE_PGM_RSRC2:USER_SGPR: 14
; COMPUTE_PGM_RSRC2:TRAP_HANDLER: 0
; COMPUTE_PGM_RSRC2:TGID_X_EN: 1
; COMPUTE_PGM_RSRC2:TGID_Y_EN: 0
; COMPUTE_PGM_RSRC2:TGID_Z_EN: 1
; COMPUTE_PGM_RSRC2:TIDIG_COMP_CNT: 0
	.text
	.protected	Transform_I8_S_110_16_16_VW_4 ; -- Begin function Transform_I8_S_110_16_16_VW_4
	.globl	Transform_I8_S_110_16_16_VW_4
	.p2align	8
	.type	Transform_I8_S_110_16_16_VW_4,@function
Transform_I8_S_110_16_16_VW_4:          ; @Transform_I8_S_110_16_16_VW_4
; %bb.0:
	s_mov_b64 s[22:23], s[0:1]
	s_load_b32 s0, s[0:1], 0x64
	v_mov_b32_e32 v41, v0
	s_mov_b32 s24, s15
	s_mov_b32 s21, s14
	;; [unrolled: 1-line block ×3, first 2 shown]
	s_waitcnt lgkmcnt(0)
	v_cmp_eq_u16_e64 s0, 0x100, s0
	s_delay_alu instid0(VALU_DEP_1)
	s_and_b32 vcc_lo, exec_lo, s0
	s_mov_b32 s0, -1
	s_cbranch_vccnz .LBB69_2
; %bb.1:
	s_add_u32 s8, s22, 0x58
	s_addc_u32 s9, s23, 0
	s_getpc_b64 s[0:1]
	s_add_u32 s0, s0, __PRETTY_FUNCTION__._ZN10amd_detail9transformIafLb1ELb1ELb0ELj16ELj16ELj4EEEvPT_PKS1_S4_T0_PKS5_S5_S7_jjjjjjbb@rel32@lo+4
	s_addc_u32 s1, s1, __PRETTY_FUNCTION__._ZN10amd_detail9transformIafLb1ELb1ELb0ELj16ELj16ELj4EEEvPT_PKS1_S4_T0_PKS5_S5_S7_jjjjjjbb@rel32@hi+12
	s_delay_alu instid0(SALU_CYCLE_1) | instskip(SKIP_3) | instid1(SALU_CYCLE_1)
	v_dual_mov_b32 v0, s0 :: v_dual_mov_b32 v1, s1
	s_getpc_b64 s[2:3]
	s_add_u32 s2, s2, __assert_fail@rel32@lo+4
	s_addc_u32 s3, s3, __assert_fail@rel32@hi+12
	s_swappc_b64 s[30:31], s[2:3]
	; divergent unreachable
	s_mov_b32 s0, 0
.LBB69_2:
	s_delay_alu instid0(SALU_CYCLE_1)
	s_and_not1_b32 vcc_lo, exec_lo, s0
	s_cbranch_vccnz .LBB69_55
; %bb.3:
	s_load_b256 s[4:11], s[22:23], 0x38
	s_waitcnt lgkmcnt(0)
	s_and_b32 s0, s4, 63
	s_lshr_b32 s1, s4, 6
	s_cmp_lg_u32 s0, 0
	s_cselect_b32 s0, -1, 0
	s_delay_alu instid0(SALU_CYCLE_1) | instskip(SKIP_4) | instid1(VALU_DEP_1)
	s_cmp_lg_u32 s0, 0
	s_addc_u32 s2, s1, 0
	s_load_b64 s[0:1], s[22:23], 0x20
	v_cvt_f32_u32_e32 v0, s2
	s_sub_i32 s11, 0, s2
	v_rcp_iflag_f32_e32 v0, v0
	s_waitcnt_depctr 0xfff
	v_mul_f32_e32 v0, 0x4f7ffffe, v0
	s_delay_alu instid0(VALU_DEP_1) | instskip(NEXT) | instid1(VALU_DEP_1)
	v_cvt_u32_f32_e32 v0, v0
	v_readfirstlane_b32 s3, v0
	s_delay_alu instid0(VALU_DEP_1) | instskip(NEXT) | instid1(SALU_CYCLE_1)
	s_mul_i32 s11, s11, s3
	s_mul_hi_u32 s11, s3, s11
	s_delay_alu instid0(SALU_CYCLE_1)
	s_add_i32 s3, s3, s11
	s_waitcnt lgkmcnt(0)
	s_cmp_eq_u64 s[0:1], 0
	s_mul_hi_u32 s3, s21, s3
	s_cbranch_scc1 .LBB69_6
; %bb.4:
	s_load_b32 s11, s[0:1], 0x0
	s_load_b64 s[0:1], s[22:23], 0x30
	s_waitcnt lgkmcnt(0)
	s_cmp_eq_u64 s[0:1], 0
	s_cbranch_scc1 .LBB69_7
.LBB69_5:
	s_load_b32 s16, s[0:1], 0x0
	s_branch .LBB69_8
.LBB69_6:
	s_clause 0x1
	s_load_b32 s11, s[22:23], 0x18
	s_load_b64 s[0:1], s[22:23], 0x30
	s_waitcnt lgkmcnt(0)
	s_cmp_eq_u64 s[0:1], 0
	s_cbranch_scc0 .LBB69_5
.LBB69_7:
	s_load_b32 s16, s[22:23], 0x28
.LBB69_8:
	s_mul_i32 s0, s3, s2
	s_add_i32 s1, s3, 1
	s_sub_i32 s0, s21, s0
	v_lshrrev_b32_e32 v0, 4, v41
	s_sub_i32 s12, s0, s2
	s_cmp_ge_u32 s0, s2
	s_cselect_b32 s1, s1, s3
	s_cselect_b32 s0, s12, s0
	s_add_i32 s3, s1, 1
	s_cmp_ge_u32 s0, s2
	s_mov_b32 s0, exec_lo
	s_cselect_b32 s1, s3, s1
	s_delay_alu instid0(SALU_CYCLE_1) | instskip(NEXT) | instid1(VALU_DEP_1)
	v_lshl_add_u32 v0, s1, 4, v0
	v_cmpx_gt_u32_e64 s5, v0
	s_cbranch_execz .LBB69_55
; %bb.9:
	v_dual_mov_b32 v12, 0 :: v_dual_lshlrev_b32 v1, 2, v41
	s_mul_i32 s1, s1, s2
	s_clause 0x1
	s_load_b128 s[12:15], s[22:23], 0x0
	s_load_b64 s[2:3], s[22:23], 0x10
	v_dual_mov_b32 v13, 0 :: v_dual_and_b32 v8, 60, v1
	s_sub_i32 s0, s21, s1
	s_bitcmp1_b32 s10, 0
	s_mul_i32 s24, s24, s9
	s_delay_alu instid0(VALU_DEP_1) | instskip(SKIP_1) | instid1(VALU_DEP_1)
	v_lshl_or_b32 v10, s0, 6, v8
	s_cselect_b32 vcc_lo, -1, 0
	v_add_nc_u32_e32 v11, 4, v10
	s_delay_alu instid0(VALU_DEP_1) | instskip(SKIP_3) | instid1(VALU_DEP_1)
	v_sub_nc_u32_e64 v9, v11, s4 clamp
	s_waitcnt lgkmcnt(0)
	s_cmp_lg_u64 s[14:15], 0
	s_cselect_b32 s5, -1, 0
	v_sub_nc_u32_e32 v4, v10, v9
	s_cmp_eq_u64 s[14:15], 0
	s_delay_alu instid0(VALU_DEP_1)
	v_mad_u64_u32 v[1:2], null, v0, s6, v[4:5]
	s_cbranch_scc1 .LBB69_11
; %bb.10:
	s_delay_alu instid0(VALU_DEP_1) | instskip(NEXT) | instid1(VALU_DEP_1)
	v_mad_u64_u32 v[2:3], null, v4, s6, v[0:1]
	v_cndmask_b32_e32 v2, v2, v1, vcc_lo
	s_delay_alu instid0(VALU_DEP_1)
	v_add_nc_u32_e32 v2, s24, v2
	global_load_i8 v2, v2, s[14:15]
	s_waitcnt vmcnt(0)
	v_cvt_f32_i32_e32 v12, v2
.LBB69_11:
	s_load_b32 s0, s[22:23], 0x50
	v_mad_u64_u32 v[2:3], null, v0, s7, v[4:5]
	s_xor_b32 s10, vcc_lo, -1
	s_waitcnt lgkmcnt(0)
	s_bitcmp1_b32 s0, 8
	s_cselect_b32 s0, -1, 0
	s_cmp_lg_u64 s[2:3], 0
	s_cselect_b32 s9, -1, 0
	s_cmp_eq_u64 s[2:3], 0
	s_cbranch_scc1 .LBB69_13
; %bb.12:
	v_mad_u64_u32 v[5:6], null, v4, s7, v[0:1]
	s_delay_alu instid0(VALU_DEP_1) | instskip(NEXT) | instid1(VALU_DEP_1)
	v_cndmask_b32_e64 v3, v5, v2, s0
	v_add_nc_u32_e32 v3, s24, v3
	global_load_i8 v3, v3, s[2:3]
	s_waitcnt vmcnt(0)
	v_cvt_f32_i32_e32 v13, v3
.LBB69_13:
	v_cndmask_b32_e64 v3, 0, 1, s10
	s_and_not1_b32 vcc_lo, exec_lo, s10
	s_cbranch_vccnz .LBB69_15
; %bb.14:
	v_mul_lo_u32 v5, s6, v4
	s_delay_alu instid0(VALU_DEP_1)
	v_add3_u32 v5, v5, s6, v0
	s_xor_b32 s0, s0, -1
	s_cbranch_execz .LBB69_16
	s_branch .LBB69_17
.LBB69_15:
                                        ; implicit-def: $vgpr5
	s_xor_b32 s0, s0, -1
.LBB69_16:
	v_add_nc_u32_e32 v5, 1, v1
.LBB69_17:
	v_cndmask_b32_e64 v16, 0, 1, s0
	s_and_not1_b32 vcc_lo, exec_lo, s0
	s_cbranch_vccnz .LBB69_19
; %bb.18:
	v_mul_lo_u32 v6, s7, v4
	s_delay_alu instid0(VALU_DEP_1)
	v_add3_u32 v6, v6, s7, v0
	s_cbranch_execz .LBB69_20
	s_branch .LBB69_21
.LBB69_19:
                                        ; implicit-def: $vgpr6
.LBB69_20:
	v_add_nc_u32_e32 v6, 1, v2
.LBB69_21:
	v_cndmask_b32_e64 v17, 0, 1, s5
	v_dual_mov_b32 v15, 0 :: v_dual_mov_b32 v14, 0
	s_and_not1_b32 vcc_lo, exec_lo, s5
	s_cbranch_vccnz .LBB69_23
; %bb.22:
	v_add_nc_u32_e32 v5, s24, v5
	global_load_i8 v5, v5, s[14:15]
	s_waitcnt vmcnt(0)
	v_cvt_f32_i32_e32 v14, v5
.LBB69_23:
	v_cndmask_b32_e64 v18, 0, 1, s9
	s_and_not1_b32 vcc_lo, exec_lo, s9
	s_cbranch_vccnz .LBB69_25
; %bb.24:
	v_add_nc_u32_e32 v5, s24, v6
	global_load_i8 v5, v5, s[2:3]
	s_waitcnt vmcnt(0)
	v_cvt_f32_i32_e32 v15, v5
.LBB69_25:
	v_cmp_ne_u32_e32 vcc_lo, 1, v3
	v_add_nc_u32_e32 v19, 2, v4
	s_cbranch_vccnz .LBB69_27
; %bb.26:
	s_delay_alu instid0(VALU_DEP_1)
	v_mad_u64_u32 v[5:6], null, v19, s6, v[0:1]
	s_cbranch_execz .LBB69_28
	s_branch .LBB69_29
.LBB69_27:
                                        ; implicit-def: $vgpr5
.LBB69_28:
	v_add_nc_u32_e32 v5, 2, v1
.LBB69_29:
	v_cmp_ne_u32_e32 vcc_lo, 1, v16
	s_cbranch_vccnz .LBB69_31
; %bb.30:
	v_mad_u64_u32 v[6:7], null, v19, s7, v[0:1]
	s_cbranch_execz .LBB69_32
	s_branch .LBB69_33
.LBB69_31:
                                        ; implicit-def: $vgpr6
.LBB69_32:
	v_add_nc_u32_e32 v6, 2, v2
.LBB69_33:
	v_cmp_ne_u32_e32 vcc_lo, 1, v17
	v_mov_b32_e32 v19, 0
	v_mov_b32_e32 v7, 0
	s_cbranch_vccnz .LBB69_35
; %bb.34:
	v_add_nc_u32_e32 v5, s24, v5
	global_load_i8 v5, v5, s[14:15]
	s_waitcnt vmcnt(0)
	v_cvt_f32_i32_e32 v7, v5
.LBB69_35:
	v_cmp_ne_u32_e32 vcc_lo, 1, v18
	s_cbranch_vccnz .LBB69_37
; %bb.36:
	v_add_nc_u32_e32 v5, s24, v6
	global_load_i8 v5, v5, s[2:3]
	s_waitcnt vmcnt(0)
	v_cvt_f32_i32_e32 v19, v5
.LBB69_37:
	v_cmp_ne_u32_e32 vcc_lo, 1, v3
	v_add_nc_u32_e32 v6, 3, v4
	s_cbranch_vccnz .LBB69_39
; %bb.38:
	s_delay_alu instid0(VALU_DEP_1)
	v_mad_u64_u32 v[3:4], null, v6, s6, v[0:1]
	s_cbranch_execz .LBB69_40
	s_branch .LBB69_41
.LBB69_39:
                                        ; implicit-def: $vgpr3
.LBB69_40:
	v_add_nc_u32_e32 v3, 3, v1
.LBB69_41:
	v_cmp_ne_u32_e32 vcc_lo, 1, v16
	s_cbranch_vccnz .LBB69_43
; %bb.42:
	v_mad_u64_u32 v[4:5], null, v6, s7, v[0:1]
	s_cbranch_execz .LBB69_44
	s_branch .LBB69_45
.LBB69_43:
                                        ; implicit-def: $vgpr4
.LBB69_44:
	v_add_nc_u32_e32 v4, 3, v2
.LBB69_45:
	v_cmp_ne_u32_e32 vcc_lo, 1, v17
	v_dual_mov_b32 v2, 0 :: v_dual_mov_b32 v1, 0
	s_cbranch_vccnz .LBB69_47
; %bb.46:
	v_add_nc_u32_e32 v1, s24, v3
	global_load_i8 v1, v1, s[14:15]
	s_waitcnt vmcnt(0)
	v_cvt_f32_i32_e32 v1, v1
.LBB69_47:
	v_cmp_ne_u32_e32 vcc_lo, 1, v18
	s_cbranch_vccnz .LBB69_49
; %bb.48:
	v_add_nc_u32_e32 v2, s24, v4
	global_load_i8 v2, v2, s[2:3]
	s_waitcnt vmcnt(0)
	v_cvt_f32_i32_e32 v2, v2
.LBB69_49:
	v_dual_mul_f32 v3, s16, v13 :: v_dual_mul_f32 v4, s16, v15
	s_delay_alu instid0(VALU_DEP_2) | instskip(SKIP_1) | instid1(VALU_DEP_3)
	v_dual_mul_f32 v5, s16, v19 :: v_dual_mul_f32 v6, s16, v2
	v_mul_lo_u32 v0, v0, s8
	v_dual_fmac_f32 v3, s11, v12 :: v_dual_fmac_f32 v4, s11, v14
	s_delay_alu instid0(VALU_DEP_3) | instskip(SKIP_1) | instid1(VALU_DEP_2)
	v_dual_fmac_f32 v5, s11, v7 :: v_dual_fmac_f32 v6, s11, v1
	s_mov_b32 s0, exec_lo
	v_cvt_i32_f32_e32 v2, v3
	s_delay_alu instid0(VALU_DEP_3) | instskip(NEXT) | instid1(VALU_DEP_3)
	v_cvt_i32_f32_e32 v1, v4
	v_cvt_i32_f32_e32 v4, v5
	;; [unrolled: 1-line block ×3, first 2 shown]
	v_cmpx_ge_u32_e64 s4, v11
	s_xor_b32 s0, exec_lo, s0
; %bb.50:
	v_add_nc_u32_e32 v5, s24, v10
                                        ; implicit-def: $vgpr8
	s_delay_alu instid0(VALU_DEP_1) | instskip(NEXT) | instid1(VALU_DEP_1)
	v_sub_nc_u32_e32 v5, v5, v9
                                        ; implicit-def: $vgpr9
	v_add_nc_u32_e32 v0, v5, v0
	s_delay_alu instid0(VALU_DEP_1)
	v_add_nc_u32_e32 v5, 1, v0
	v_add_nc_u32_e32 v6, 2, v0
	v_add_nc_u32_e32 v7, 3, v0
	s_clause 0x3
	global_store_b8 v0, v2, s[12:13]
	global_store_b8 v5, v1, s[12:13]
	;; [unrolled: 1-line block ×4, first 2 shown]
                                        ; implicit-def: $vgpr1
                                        ; implicit-def: $vgpr2
                                        ; implicit-def: $vgpr3
                                        ; implicit-def: $vgpr4
                                        ; implicit-def: $vgpr0
; %bb.51:
	s_and_not1_saveexec_b32 s0, s0
	s_cbranch_execz .LBB69_55
; %bb.52:
	v_cmp_gt_u32_e32 vcc_lo, 4, v9
	s_and_b32 exec_lo, exec_lo, vcc_lo
	s_cbranch_execz .LBB69_55
; %bb.53:
	v_lshl_or_b32 v5, s21, 6, v8
	s_lshl_b32 s0, s1, 6
	v_lshlrev_b16 v1, 8, v1
	v_and_b32_e32 v2, 0xff, v2
	v_lshlrev_b16 v3, 8, v3
	v_subrev_nc_u32_e32 v6, s0, v5
	v_and_b32_e32 v4, 0xff, v4
	s_delay_alu instid0(VALU_DEP_4) | instskip(NEXT) | instid1(VALU_DEP_3)
	v_or_b32_e32 v1, v2, v1
	v_add_nc_u32_e32 v7, 4, v6
	s_delay_alu instid0(VALU_DEP_3) | instskip(SKIP_1) | instid1(VALU_DEP_4)
	v_or_b32_e32 v2, v4, v3
	v_add3_u32 v4, s24, v0, v5
	v_and_b32_e32 v1, 0xffff, v1
	s_delay_alu instid0(VALU_DEP_4) | instskip(NEXT) | instid1(VALU_DEP_4)
	v_min_u32_e32 v3, s4, v7
	v_lshlrev_b32_e32 v2, 16, v2
	s_delay_alu instid0(VALU_DEP_2) | instskip(NEXT) | instid1(VALU_DEP_2)
	v_sub_nc_u32_e32 v3, v6, v3
	v_or_b32_e32 v0, v1, v2
	v_subrev_nc_u32_e32 v2, s0, v4
	s_mov_b32 s0, 0
	s_delay_alu instid0(VALU_DEP_3)
	v_add_nc_u32_e32 v1, 3, v3
.LBB69_54:                              ; =>This Inner Loop Header: Depth=1
	s_delay_alu instid0(VALU_DEP_1) | instskip(NEXT) | instid1(VALU_DEP_1)
	v_add_nc_u32_e32 v1, 1, v1
	v_lshlrev_b32_e32 v3, 3, v1
	v_cmp_lt_u32_e32 vcc_lo, 2, v1
	s_delay_alu instid0(VALU_DEP_2)
	v_lshrrev_b32_e32 v3, v3, v0
	s_or_b32 s0, vcc_lo, s0
	global_store_b8 v2, v3, s[12:13]
	v_add_nc_u32_e32 v2, 1, v2
	s_and_not1_b32 exec_lo, exec_lo, s0
	s_cbranch_execnz .LBB69_54
.LBB69_55:
	s_endpgm
	.section	.rodata,"a",@progbits
	.p2align	6, 0x0
	.amdhsa_kernel Transform_I8_S_110_16_16_VW_4
		.amdhsa_group_segment_fixed_size 0
		.amdhsa_private_segment_fixed_size 64
		.amdhsa_kernarg_size 344
		.amdhsa_user_sgpr_count 14
		.amdhsa_user_sgpr_dispatch_ptr 0
		.amdhsa_user_sgpr_queue_ptr 0
		.amdhsa_user_sgpr_kernarg_segment_ptr 1
		.amdhsa_user_sgpr_dispatch_id 0
		.amdhsa_user_sgpr_private_segment_size 0
		.amdhsa_wavefront_size32 1
		.amdhsa_uses_dynamic_stack 0
		.amdhsa_enable_private_segment 1
		.amdhsa_system_sgpr_workgroup_id_x 1
		.amdhsa_system_sgpr_workgroup_id_y 0
		.amdhsa_system_sgpr_workgroup_id_z 1
		.amdhsa_system_sgpr_workgroup_info 0
		.amdhsa_system_vgpr_workitem_id 0
		.amdhsa_next_free_vgpr 42
		.amdhsa_next_free_sgpr 34
		.amdhsa_reserve_vcc 1
		.amdhsa_float_round_mode_32 0
		.amdhsa_float_round_mode_16_64 0
		.amdhsa_float_denorm_mode_32 3
		.amdhsa_float_denorm_mode_16_64 3
		.amdhsa_dx10_clamp 1
		.amdhsa_ieee_mode 1
		.amdhsa_fp16_overflow 0
		.amdhsa_workgroup_processor_mode 1
		.amdhsa_memory_ordered 1
		.amdhsa_forward_progress 0
		.amdhsa_shared_vgpr_count 0
		.amdhsa_exception_fp_ieee_invalid_op 0
		.amdhsa_exception_fp_denorm_src 0
		.amdhsa_exception_fp_ieee_div_zero 0
		.amdhsa_exception_fp_ieee_overflow 0
		.amdhsa_exception_fp_ieee_underflow 0
		.amdhsa_exception_fp_ieee_inexact 0
		.amdhsa_exception_int_div_zero 0
	.end_amdhsa_kernel
	.text
.Lfunc_end69:
	.size	Transform_I8_S_110_16_16_VW_4, .Lfunc_end69-Transform_I8_S_110_16_16_VW_4
                                        ; -- End function
	.section	.AMDGPU.csdata,"",@progbits
; Kernel info:
; codeLenInByte = 1452
; NumSgprs: 36
; NumVgprs: 42
; ScratchSize: 64
; MemoryBound: 0
; FloatMode: 240
; IeeeMode: 1
; LDSByteSize: 0 bytes/workgroup (compile time only)
; SGPRBlocks: 4
; VGPRBlocks: 5
; NumSGPRsForWavesPerEU: 36
; NumVGPRsForWavesPerEU: 42
; Occupancy: 16
; WaveLimiterHint : 1
; COMPUTE_PGM_RSRC2:SCRATCH_EN: 1
; COMPUTE_PGM_RSRC2:USER_SGPR: 14
; COMPUTE_PGM_RSRC2:TRAP_HANDLER: 0
; COMPUTE_PGM_RSRC2:TGID_X_EN: 1
; COMPUTE_PGM_RSRC2:TGID_Y_EN: 0
; COMPUTE_PGM_RSRC2:TGID_Z_EN: 1
; COMPUTE_PGM_RSRC2:TIDIG_COMP_CNT: 0
	.text
	.protected	Transform_I8_S_101_16_16_VW_1 ; -- Begin function Transform_I8_S_101_16_16_VW_1
	.globl	Transform_I8_S_101_16_16_VW_1
	.p2align	8
	.type	Transform_I8_S_101_16_16_VW_1,@function
Transform_I8_S_101_16_16_VW_1:          ; @Transform_I8_S_101_16_16_VW_1
; %bb.0:
	s_mov_b64 s[22:23], s[0:1]
	s_load_b32 s0, s[0:1], 0x64
	v_mov_b32_e32 v41, v0
	s_mov_b32 s21, s15
	s_mov_b32 s24, s14
	;; [unrolled: 1-line block ×3, first 2 shown]
	s_waitcnt lgkmcnt(0)
	v_cmp_eq_u16_e64 s0, 0x100, s0
	s_delay_alu instid0(VALU_DEP_1)
	s_and_b32 vcc_lo, exec_lo, s0
	s_mov_b32 s0, -1
	s_cbranch_vccnz .LBB70_2
; %bb.1:
	s_add_u32 s8, s22, 0x58
	s_addc_u32 s9, s23, 0
	s_getpc_b64 s[0:1]
	s_add_u32 s0, s0, __PRETTY_FUNCTION__._ZN10amd_detail9transformIafLb1ELb0ELb1ELj16ELj16ELj1EEEvPT_PKS1_S4_T0_PKS5_S5_S7_jjjjjjbb@rel32@lo+4
	s_addc_u32 s1, s1, __PRETTY_FUNCTION__._ZN10amd_detail9transformIafLb1ELb0ELb1ELj16ELj16ELj1EEEvPT_PKS1_S4_T0_PKS5_S5_S7_jjjjjjbb@rel32@hi+12
	s_delay_alu instid0(SALU_CYCLE_1) | instskip(SKIP_3) | instid1(SALU_CYCLE_1)
	v_dual_mov_b32 v0, s0 :: v_dual_mov_b32 v1, s1
	s_getpc_b64 s[2:3]
	s_add_u32 s2, s2, __assert_fail@rel32@lo+4
	s_addc_u32 s3, s3, __assert_fail@rel32@hi+12
	s_swappc_b64 s[30:31], s[2:3]
	; divergent unreachable
	s_mov_b32 s0, 0
.LBB70_2:
	s_delay_alu instid0(SALU_CYCLE_1)
	s_and_not1_b32 vcc_lo, exec_lo, s0
	s_cbranch_vccnz .LBB70_14
; %bb.3:
	s_load_b256 s[0:7], s[22:23], 0x38
	s_waitcnt lgkmcnt(0)
	s_and_b32 s7, s0, 15
	s_lshr_b32 s8, s0, 4
	s_cmp_lg_u32 s7, 0
	s_cselect_b32 s7, -1, 0
	s_delay_alu instid0(SALU_CYCLE_1) | instskip(SKIP_4) | instid1(VALU_DEP_1)
	s_cmp_lg_u32 s7, 0
	s_addc_u32 s10, s8, 0
	s_load_b64 s[8:9], s[22:23], 0x20
	v_cvt_f32_u32_e32 v0, s10
	s_sub_i32 s11, 0, s10
	v_rcp_iflag_f32_e32 v0, v0
	s_waitcnt_depctr 0xfff
	v_mul_f32_e32 v0, 0x4f7ffffe, v0
	s_delay_alu instid0(VALU_DEP_1) | instskip(NEXT) | instid1(VALU_DEP_1)
	v_cvt_u32_f32_e32 v0, v0
	v_readfirstlane_b32 s7, v0
	s_delay_alu instid0(VALU_DEP_1) | instskip(NEXT) | instid1(SALU_CYCLE_1)
	s_mul_i32 s11, s11, s7
	s_mul_hi_u32 s11, s7, s11
	s_delay_alu instid0(SALU_CYCLE_1)
	s_add_i32 s7, s7, s11
	s_waitcnt lgkmcnt(0)
	s_cmp_eq_u64 s[8:9], 0
	s_mul_hi_u32 s11, s24, s7
	s_cbranch_scc1 .LBB70_6
; %bb.4:
	s_load_b32 s7, s[8:9], 0x0
	s_load_b64 s[8:9], s[22:23], 0x30
	s_waitcnt lgkmcnt(0)
	s_cmp_eq_u64 s[8:9], 0
	s_cbranch_scc1 .LBB70_7
.LBB70_5:
	s_load_b32 s12, s[8:9], 0x0
	s_branch .LBB70_8
.LBB70_6:
	s_clause 0x1
	s_load_b32 s7, s[22:23], 0x18
	s_load_b64 s[8:9], s[22:23], 0x30
	s_waitcnt lgkmcnt(0)
	s_cmp_eq_u64 s[8:9], 0
	s_cbranch_scc0 .LBB70_5
.LBB70_7:
	s_load_b32 s12, s[22:23], 0x28
.LBB70_8:
	s_mul_i32 s8, s11, s10
	s_add_i32 s9, s11, 1
	s_sub_i32 s8, s24, s8
	v_and_b32_e32 v0, 15, v41
	s_sub_i32 s13, s8, s10
	s_cmp_ge_u32 s8, s10
	v_lshrrev_b32_e32 v2, 4, v41
	s_cselect_b32 s9, s9, s11
	s_cselect_b32 s8, s13, s8
	s_add_i32 s11, s9, 1
	s_cmp_ge_u32 s8, s10
	s_cselect_b32 s8, s11, s9
	s_delay_alu instid0(SALU_CYCLE_1) | instskip(NEXT) | instid1(SALU_CYCLE_1)
	s_mul_i32 s9, s8, s10
	s_sub_i32 s9, s24, s9
	s_delay_alu instid0(SALU_CYCLE_1) | instskip(SKIP_1) | instid1(VALU_DEP_2)
	v_lshl_or_b32 v1, s9, 4, v0
	v_lshl_add_u32 v0, s8, 4, v2
	v_cmp_gt_u32_e32 vcc_lo, s0, v1
	s_delay_alu instid0(VALU_DEP_2) | instskip(NEXT) | instid1(VALU_DEP_1)
	v_cmp_gt_u32_e64 s0, s1, v0
	s_and_b32 s0, vcc_lo, s0
	s_delay_alu instid0(SALU_CYCLE_1)
	s_and_saveexec_b32 s1, s0
	s_cbranch_execz .LBB70_14
; %bb.9:
	s_clause 0x1
	s_load_b128 s[8:11], s[22:23], 0x0
	s_load_b64 s[0:1], s[22:23], 0x10
	v_dual_mov_b32 v3, 0 :: v_dual_mov_b32 v2, 0
	s_mul_i32 s21, s21, s5
	s_waitcnt lgkmcnt(0)
	s_cmp_eq_u64 s[10:11], 0
	s_cbranch_scc1 .LBB70_11
; %bb.10:
	s_bitcmp1_b32 s6, 0
	s_cselect_b32 vcc_lo, -1, 0
	v_cndmask_b32_e32 v2, v1, v0, vcc_lo
	v_cndmask_b32_e32 v4, v0, v1, vcc_lo
	s_delay_alu instid0(VALU_DEP_2) | instskip(NEXT) | instid1(VALU_DEP_1)
	v_mul_lo_u32 v2, v2, s2
	v_add3_u32 v2, v4, s21, v2
	global_load_i8 v2, v2, s[10:11]
	s_waitcnt vmcnt(0)
	v_cvt_f32_i32_e32 v2, v2
.LBB70_11:
	s_cmp_eq_u64 s[0:1], 0
	s_cbranch_scc1 .LBB70_13
; %bb.12:
	s_load_b32 s2, s[22:23], 0x50
	s_waitcnt lgkmcnt(0)
	s_bitcmp1_b32 s2, 8
	s_cselect_b32 vcc_lo, -1, 0
	v_dual_cndmask_b32 v3, v0, v1 :: v_dual_cndmask_b32 v4, v1, v0
	s_delay_alu instid0(VALU_DEP_1) | instskip(NEXT) | instid1(VALU_DEP_1)
	v_mul_lo_u32 v3, v3, s3
	v_add3_u32 v3, v4, s21, v3
	global_load_i8 v3, v3, s[0:1]
	s_waitcnt vmcnt(0)
	v_cvt_f32_i32_e32 v3, v3
.LBB70_13:
	s_delay_alu instid0(VALU_DEP_1) | instskip(SKIP_1) | instid1(VALU_DEP_2)
	v_mul_f32_e32 v3, s12, v3
	v_mul_lo_u32 v1, v1, s4
	v_fmac_f32_e32 v3, s7, v2
	s_delay_alu instid0(VALU_DEP_2) | instskip(NEXT) | instid1(VALU_DEP_2)
	v_add3_u32 v0, v0, s21, v1
	v_cvt_i32_f32_e32 v2, v3
	global_store_b8 v0, v2, s[8:9]
.LBB70_14:
	s_endpgm
	.section	.rodata,"a",@progbits
	.p2align	6, 0x0
	.amdhsa_kernel Transform_I8_S_101_16_16_VW_1
		.amdhsa_group_segment_fixed_size 0
		.amdhsa_private_segment_fixed_size 64
		.amdhsa_kernarg_size 344
		.amdhsa_user_sgpr_count 14
		.amdhsa_user_sgpr_dispatch_ptr 0
		.amdhsa_user_sgpr_queue_ptr 0
		.amdhsa_user_sgpr_kernarg_segment_ptr 1
		.amdhsa_user_sgpr_dispatch_id 0
		.amdhsa_user_sgpr_private_segment_size 0
		.amdhsa_wavefront_size32 1
		.amdhsa_uses_dynamic_stack 0
		.amdhsa_enable_private_segment 1
		.amdhsa_system_sgpr_workgroup_id_x 1
		.amdhsa_system_sgpr_workgroup_id_y 0
		.amdhsa_system_sgpr_workgroup_id_z 1
		.amdhsa_system_sgpr_workgroup_info 0
		.amdhsa_system_vgpr_workitem_id 0
		.amdhsa_next_free_vgpr 42
		.amdhsa_next_free_sgpr 34
		.amdhsa_reserve_vcc 1
		.amdhsa_float_round_mode_32 0
		.amdhsa_float_round_mode_16_64 0
		.amdhsa_float_denorm_mode_32 3
		.amdhsa_float_denorm_mode_16_64 3
		.amdhsa_dx10_clamp 1
		.amdhsa_ieee_mode 1
		.amdhsa_fp16_overflow 0
		.amdhsa_workgroup_processor_mode 1
		.amdhsa_memory_ordered 1
		.amdhsa_forward_progress 0
		.amdhsa_shared_vgpr_count 0
		.amdhsa_exception_fp_ieee_invalid_op 0
		.amdhsa_exception_fp_denorm_src 0
		.amdhsa_exception_fp_ieee_div_zero 0
		.amdhsa_exception_fp_ieee_overflow 0
		.amdhsa_exception_fp_ieee_underflow 0
		.amdhsa_exception_fp_ieee_inexact 0
		.amdhsa_exception_int_div_zero 0
	.end_amdhsa_kernel
	.text
.Lfunc_end70:
	.size	Transform_I8_S_101_16_16_VW_1, .Lfunc_end70-Transform_I8_S_101_16_16_VW_1
                                        ; -- End function
	.section	.AMDGPU.csdata,"",@progbits
; Kernel info:
; codeLenInByte = 672
; NumSgprs: 36
; NumVgprs: 42
; ScratchSize: 64
; MemoryBound: 0
; FloatMode: 240
; IeeeMode: 1
; LDSByteSize: 0 bytes/workgroup (compile time only)
; SGPRBlocks: 4
; VGPRBlocks: 5
; NumSGPRsForWavesPerEU: 36
; NumVGPRsForWavesPerEU: 42
; Occupancy: 16
; WaveLimiterHint : 1
; COMPUTE_PGM_RSRC2:SCRATCH_EN: 1
; COMPUTE_PGM_RSRC2:USER_SGPR: 14
; COMPUTE_PGM_RSRC2:TRAP_HANDLER: 0
; COMPUTE_PGM_RSRC2:TGID_X_EN: 1
; COMPUTE_PGM_RSRC2:TGID_Y_EN: 0
; COMPUTE_PGM_RSRC2:TGID_Z_EN: 1
; COMPUTE_PGM_RSRC2:TIDIG_COMP_CNT: 0
	.text
	.protected	Transform_I8_S_101_16_16_VW_4 ; -- Begin function Transform_I8_S_101_16_16_VW_4
	.globl	Transform_I8_S_101_16_16_VW_4
	.p2align	8
	.type	Transform_I8_S_101_16_16_VW_4,@function
Transform_I8_S_101_16_16_VW_4:          ; @Transform_I8_S_101_16_16_VW_4
; %bb.0:
	s_mov_b64 s[22:23], s[0:1]
	s_load_b32 s0, s[0:1], 0x64
	v_mov_b32_e32 v41, v0
	s_mov_b32 s24, s15
	s_mov_b32 s21, s14
	;; [unrolled: 1-line block ×3, first 2 shown]
	s_waitcnt lgkmcnt(0)
	v_cmp_eq_u16_e64 s0, 0x100, s0
	s_delay_alu instid0(VALU_DEP_1)
	s_and_b32 vcc_lo, exec_lo, s0
	s_mov_b32 s0, -1
	s_cbranch_vccnz .LBB71_2
; %bb.1:
	s_add_u32 s8, s22, 0x58
	s_addc_u32 s9, s23, 0
	s_getpc_b64 s[0:1]
	s_add_u32 s0, s0, __PRETTY_FUNCTION__._ZN10amd_detail9transformIafLb1ELb0ELb1ELj16ELj16ELj4EEEvPT_PKS1_S4_T0_PKS5_S5_S7_jjjjjjbb@rel32@lo+4
	s_addc_u32 s1, s1, __PRETTY_FUNCTION__._ZN10amd_detail9transformIafLb1ELb0ELb1ELj16ELj16ELj4EEEvPT_PKS1_S4_T0_PKS5_S5_S7_jjjjjjbb@rel32@hi+12
	s_delay_alu instid0(SALU_CYCLE_1) | instskip(SKIP_3) | instid1(SALU_CYCLE_1)
	v_dual_mov_b32 v0, s0 :: v_dual_mov_b32 v1, s1
	s_getpc_b64 s[2:3]
	s_add_u32 s2, s2, __assert_fail@rel32@lo+4
	s_addc_u32 s3, s3, __assert_fail@rel32@hi+12
	s_swappc_b64 s[30:31], s[2:3]
	; divergent unreachable
	s_mov_b32 s0, 0
.LBB71_2:
	s_delay_alu instid0(SALU_CYCLE_1)
	s_and_not1_b32 vcc_lo, exec_lo, s0
	s_cbranch_vccnz .LBB71_55
; %bb.3:
	s_load_b128 s[0:3], s[22:23], 0x38
	s_waitcnt lgkmcnt(0)
	s_and_b32 s4, s0, 15
	s_lshr_b32 s5, s0, 4
	s_cmp_lg_u32 s4, 0
	s_cselect_b32 s4, -1, 0
	s_delay_alu instid0(SALU_CYCLE_1) | instskip(SKIP_4) | instid1(VALU_DEP_1)
	s_cmp_lg_u32 s4, 0
	s_addc_u32 s6, s5, 0
	s_load_b64 s[4:5], s[22:23], 0x20
	v_cvt_f32_u32_e32 v0, s6
	s_sub_i32 s8, 0, s6
	v_rcp_iflag_f32_e32 v0, v0
	s_waitcnt_depctr 0xfff
	v_mul_f32_e32 v0, 0x4f7ffffe, v0
	s_delay_alu instid0(VALU_DEP_1) | instskip(NEXT) | instid1(VALU_DEP_1)
	v_cvt_u32_f32_e32 v0, v0
	v_readfirstlane_b32 s7, v0
	s_delay_alu instid0(VALU_DEP_1) | instskip(NEXT) | instid1(SALU_CYCLE_1)
	s_mul_i32 s8, s8, s7
	s_mul_hi_u32 s8, s7, s8
	s_delay_alu instid0(SALU_CYCLE_1)
	s_add_i32 s7, s7, s8
	s_waitcnt lgkmcnt(0)
	s_cmp_eq_u64 s[4:5], 0
	s_mul_hi_u32 s7, s21, s7
	s_cbranch_scc1 .LBB71_6
; %bb.4:
	s_load_b32 s15, s[4:5], 0x0
	s_load_b64 s[4:5], s[22:23], 0x30
	s_waitcnt lgkmcnt(0)
	s_cmp_eq_u64 s[4:5], 0
	s_cbranch_scc1 .LBB71_7
.LBB71_5:
	s_load_b32 s16, s[4:5], 0x0
	s_branch .LBB71_8
.LBB71_6:
	s_clause 0x1
	s_load_b32 s15, s[22:23], 0x18
	s_load_b64 s[4:5], s[22:23], 0x30
	s_waitcnt lgkmcnt(0)
	s_cmp_eq_u64 s[4:5], 0
	s_cbranch_scc0 .LBB71_5
.LBB71_7:
	s_load_b32 s16, s[22:23], 0x28
.LBB71_8:
	s_mul_i32 s4, s7, s6
	s_add_i32 s5, s7, 1
	s_sub_i32 s4, s21, s4
	v_and_b32_e32 v5, 15, v41
	s_sub_i32 s8, s4, s6
	s_cmp_ge_u32 s4, s6
	s_cselect_b32 s5, s5, s7
	s_cselect_b32 s4, s8, s4
	s_add_i32 s7, s5, 1
	s_cmp_ge_u32 s4, s6
	s_cselect_b32 s12, s7, s5
	s_delay_alu instid0(SALU_CYCLE_1) | instskip(NEXT) | instid1(SALU_CYCLE_1)
	s_mul_i32 s14, s12, s6
	s_sub_i32 s4, s21, s14
	s_delay_alu instid0(SALU_CYCLE_1) | instskip(NEXT) | instid1(VALU_DEP_1)
	v_lshl_or_b32 v1, s4, 4, v5
	v_cmp_gt_u32_e32 vcc_lo, s0, v1
	s_and_saveexec_b32 s0, vcc_lo
	s_cbranch_execz .LBB71_55
; %bb.9:
	v_lshrrev_b32_e32 v0, 2, v41
	s_clause 0x1
	s_load_b128 s[8:11], s[22:23], 0x48
	s_load_b128 s[4:7], s[22:23], 0x0
	s_waitcnt lgkmcnt(0)
	s_lshl_b32 s11, s12, 6
	s_load_b64 s[12:13], s[22:23], 0x10
	v_dual_mov_b32 v9, 0 :: v_dual_and_b32 v6, 0xfc, v0
	v_mov_b32_e32 v10, 0
	s_delay_alu instid0(VALU_DEP_2) | instskip(NEXT) | instid1(VALU_DEP_1)
	v_add_nc_u32_e32 v0, s11, v6
	v_add_nc_u32_e32 v7, 4, v0
	v_mad_u64_u32 v[2:3], null, v1, s2, v[0:1]
	s_bitcmp1_b32 s10, 0
	s_delay_alu instid0(VALU_DEP_2) | instskip(SKIP_4) | instid1(VALU_DEP_2)
	v_sub_nc_u32_e64 v8, v7, s1 clamp
	s_cselect_b32 vcc_lo, -1, 0
	s_cmp_lg_u64 s[6:7], 0
	s_mul_i32 s24, s24, s9
	s_cselect_b32 s10, -1, 0
	v_sub_nc_u32_e32 v13, v2, v8
	v_sub_nc_u32_e32 v12, v0, v8
	s_cmp_eq_u64 s[6:7], 0
	s_cbranch_scc1 .LBB71_11
; %bb.10:
	s_delay_alu instid0(VALU_DEP_1) | instskip(NEXT) | instid1(VALU_DEP_1)
	v_mad_u64_u32 v[2:3], null, v12, s2, v[1:2]
	v_cndmask_b32_e32 v2, v13, v2, vcc_lo
	s_delay_alu instid0(VALU_DEP_1)
	v_add_nc_u32_e32 v2, s24, v2
	global_load_i8 v2, v2, s[6:7]
	s_waitcnt vmcnt(0)
	v_cvt_f32_i32_e32 v9, v2
.LBB71_11:
	s_load_b32 s0, s[22:23], 0x50
	v_mad_u64_u32 v[2:3], null, v1, s3, v[0:1]
	s_xor_b32 s17, vcc_lo, -1
	s_delay_alu instid0(VALU_DEP_1)
	v_sub_nc_u32_e32 v11, v2, v8
	s_waitcnt lgkmcnt(0)
	s_bitcmp1_b32 s0, 8
	s_cselect_b32 s0, -1, 0
	s_cmp_lg_u64 s[12:13], 0
	s_cselect_b32 s9, -1, 0
	s_cmp_eq_u64 s[12:13], 0
	s_cbranch_scc1 .LBB71_13
; %bb.12:
	v_mad_u64_u32 v[2:3], null, v12, s3, v[1:2]
	s_delay_alu instid0(VALU_DEP_1) | instskip(NEXT) | instid1(VALU_DEP_1)
	v_cndmask_b32_e64 v2, v2, v11, s0
	v_add_nc_u32_e32 v2, s24, v2
	global_load_i8 v2, v2, s[12:13]
	s_waitcnt vmcnt(0)
	v_cvt_f32_i32_e32 v10, v2
.LBB71_13:
	v_cndmask_b32_e64 v16, 0, 1, s17
	s_and_not1_b32 vcc_lo, exec_lo, s17
	s_cbranch_vccnz .LBB71_15
; %bb.14:
	v_add_nc_u32_e32 v2, 1, v13
	s_xor_b32 s0, s0, -1
	s_cbranch_execz .LBB71_16
	s_branch .LBB71_17
.LBB71_15:
                                        ; implicit-def: $vgpr2
	s_xor_b32 s0, s0, -1
.LBB71_16:
	v_mul_lo_u32 v2, s2, v12
	s_delay_alu instid0(VALU_DEP_1)
	v_add3_u32 v2, v2, s2, v1
.LBB71_17:
	v_cndmask_b32_e64 v17, 0, 1, s0
	s_and_not1_b32 vcc_lo, exec_lo, s0
	s_cbranch_vccnz .LBB71_19
; %bb.18:
	v_mul_lo_u32 v3, s3, v12
	s_delay_alu instid0(VALU_DEP_1)
	v_add3_u32 v3, v3, s3, v1
	s_cbranch_execz .LBB71_20
	s_branch .LBB71_21
.LBB71_19:
                                        ; implicit-def: $vgpr3
.LBB71_20:
	v_add_nc_u32_e32 v3, 1, v11
.LBB71_21:
	v_cndmask_b32_e64 v18, 0, 1, s10
	v_dual_mov_b32 v15, 0 :: v_dual_mov_b32 v14, 0
	s_and_not1_b32 vcc_lo, exec_lo, s10
	s_cbranch_vccnz .LBB71_23
; %bb.22:
	v_add_nc_u32_e32 v2, s24, v2
	global_load_i8 v2, v2, s[6:7]
	s_waitcnt vmcnt(0)
	v_cvt_f32_i32_e32 v14, v2
.LBB71_23:
	v_cndmask_b32_e64 v19, 0, 1, s9
	s_and_not1_b32 vcc_lo, exec_lo, s9
	s_cbranch_vccnz .LBB71_25
; %bb.24:
	v_add_nc_u32_e32 v2, s24, v3
	global_load_i8 v2, v2, s[12:13]
	s_waitcnt vmcnt(0)
	v_cvt_f32_i32_e32 v15, v2
.LBB71_25:
	v_cmp_ne_u32_e32 vcc_lo, 1, v16
	s_cbranch_vccnz .LBB71_27
; %bb.26:
	v_add_nc_u32_e32 v2, 2, v13
	v_add_nc_u32_e32 v20, 2, v12
	s_cbranch_execz .LBB71_28
	s_branch .LBB71_29
.LBB71_27:
                                        ; implicit-def: $vgpr2
	v_add_nc_u32_e32 v20, 2, v12
.LBB71_28:
	s_delay_alu instid0(VALU_DEP_1)
	v_mad_u64_u32 v[2:3], null, v20, s2, v[1:2]
.LBB71_29:
	v_cmp_ne_u32_e32 vcc_lo, 1, v17
	s_cbranch_vccnz .LBB71_31
; %bb.30:
	s_delay_alu instid0(VALU_DEP_2)
	v_mad_u64_u32 v[3:4], null, v20, s3, v[1:2]
	s_cbranch_execz .LBB71_32
	s_branch .LBB71_33
.LBB71_31:
                                        ; implicit-def: $vgpr3
.LBB71_32:
	v_add_nc_u32_e32 v3, 2, v11
.LBB71_33:
	v_cmp_ne_u32_e32 vcc_lo, 1, v18
	v_dual_mov_b32 v21, 0 :: v_dual_mov_b32 v20, 0
	s_cbranch_vccnz .LBB71_35
; %bb.34:
	v_add_nc_u32_e32 v2, s24, v2
	global_load_i8 v2, v2, s[6:7]
	s_waitcnt vmcnt(0)
	v_cvt_f32_i32_e32 v20, v2
.LBB71_35:
	v_cmp_ne_u32_e32 vcc_lo, 1, v19
	s_cbranch_vccnz .LBB71_37
; %bb.36:
	v_add_nc_u32_e32 v2, s24, v3
	global_load_i8 v2, v2, s[12:13]
	s_waitcnt vmcnt(0)
	v_cvt_f32_i32_e32 v21, v2
.LBB71_37:
	v_cmp_ne_u32_e32 vcc_lo, 1, v16
	s_cbranch_vccnz .LBB71_39
; %bb.38:
	v_add_nc_u32_e32 v2, 3, v13
	v_add_nc_u32_e32 v12, 3, v12
	s_cbranch_execz .LBB71_40
	s_branch .LBB71_41
.LBB71_39:
                                        ; implicit-def: $vgpr2
	v_add_nc_u32_e32 v12, 3, v12
.LBB71_40:
	s_delay_alu instid0(VALU_DEP_1)
	v_mad_u64_u32 v[2:3], null, v12, s2, v[1:2]
.LBB71_41:
	v_cmp_ne_u32_e32 vcc_lo, 1, v17
	s_cbranch_vccnz .LBB71_43
; %bb.42:
	s_delay_alu instid0(VALU_DEP_2)
	v_mad_u64_u32 v[3:4], null, v12, s3, v[1:2]
	s_cbranch_execz .LBB71_44
	s_branch .LBB71_45
.LBB71_43:
                                        ; implicit-def: $vgpr3
.LBB71_44:
	v_add_nc_u32_e32 v3, 3, v11
.LBB71_45:
	v_cmp_ne_u32_e32 vcc_lo, 1, v18
	v_dual_mov_b32 v11, 0 :: v_dual_mov_b32 v4, 0
	s_cbranch_vccnz .LBB71_47
; %bb.46:
	v_add_nc_u32_e32 v2, s24, v2
	global_load_i8 v2, v2, s[6:7]
	s_waitcnt vmcnt(0)
	v_cvt_f32_i32_e32 v4, v2
.LBB71_47:
	v_cmp_ne_u32_e32 vcc_lo, 1, v19
	s_cbranch_vccnz .LBB71_49
; %bb.48:
	v_add_nc_u32_e32 v2, s24, v3
	global_load_i8 v2, v2, s[12:13]
	s_waitcnt vmcnt(0)
	v_cvt_f32_i32_e32 v11, v2
.LBB71_49:
	s_delay_alu instid0(VALU_DEP_1) | instskip(SKIP_3) | instid1(VALU_DEP_3)
	v_dual_mul_f32 v2, s16, v10 :: v_dual_mul_f32 v11, s16, v11
	v_mul_f32_e32 v10, s16, v15
	v_mul_f32_e32 v12, s16, v21
	s_mov_b32 s0, exec_lo
	v_dual_fmac_f32 v2, s15, v9 :: v_dual_fmac_f32 v11, s15, v4
	s_delay_alu instid0(VALU_DEP_3) | instskip(NEXT) | instid1(VALU_DEP_3)
	v_fmac_f32_e32 v10, s15, v14
	v_fmac_f32_e32 v12, s15, v20
	s_delay_alu instid0(VALU_DEP_3) | instskip(NEXT) | instid1(VALU_DEP_4)
	v_cvt_i32_f32_e32 v3, v2
	v_cvt_i32_f32_e32 v4, v11
	s_delay_alu instid0(VALU_DEP_4) | instskip(NEXT) | instid1(VALU_DEP_4)
	v_cvt_i32_f32_e32 v9, v10
	v_cvt_i32_f32_e32 v2, v12
	v_cmpx_ge_u32_e64 s1, v7
	s_xor_b32 s0, exec_lo, s0
; %bb.50:
	v_mul_lo_u32 v1, v1, s8
                                        ; implicit-def: $vgpr7
	s_delay_alu instid0(VALU_DEP_1) | instskip(NEXT) | instid1(VALU_DEP_1)
	v_add3_u32 v0, v0, s24, v1
	v_sub_nc_u32_e32 v0, v0, v8
                                        ; implicit-def: $vgpr8
	s_delay_alu instid0(VALU_DEP_1)
	v_add_nc_u32_e32 v1, 1, v0
	v_add_nc_u32_e32 v5, 2, v0
	v_add_nc_u32_e32 v6, 3, v0
	s_clause 0x3
	global_store_b8 v0, v3, s[4:5]
	global_store_b8 v1, v9, s[4:5]
	;; [unrolled: 1-line block ×4, first 2 shown]
                                        ; implicit-def: $vgpr5
                                        ; implicit-def: $vgpr6
                                        ; implicit-def: $vgpr0
                                        ; implicit-def: $vgpr3
                                        ; implicit-def: $vgpr9
                                        ; implicit-def: $vgpr2
                                        ; implicit-def: $vgpr4
; %bb.51:
	s_and_not1_saveexec_b32 s0, s0
	s_cbranch_execz .LBB71_55
; %bb.52:
	v_cmp_gt_u32_e32 vcc_lo, 4, v8
	s_and_b32 exec_lo, exec_lo, vcc_lo
	s_cbranch_execz .LBB71_55
; %bb.53:
	v_lshlrev_b16 v1, 8, v9
	v_and_b32_e32 v3, 0xff, v3
	v_lshl_or_b32 v5, s21, 4, v5
	v_lshlrev_b16 v4, 8, v4
	v_and_b32_e32 v2, 0xff, v2
	s_lshl_b32 s0, s14, 4
	v_or_b32_e32 v1, v3, v1
	v_subrev_nc_u32_e32 v3, s0, v5
	s_add_i32 s11, s11, s24
	v_or_b32_e32 v2, v2, v4
	v_min_u32_e32 v4, s1, v7
	v_and_b32_e32 v1, 0xffff, v1
	v_mul_lo_u32 v3, s8, v3
	s_mov_b32 s0, 0
	v_lshlrev_b32_e32 v2, 16, v2
	v_sub_nc_u32_e32 v4, v0, v4
	s_delay_alu instid0(VALU_DEP_2) | instskip(NEXT) | instid1(VALU_DEP_2)
	v_or_b32_e32 v0, v1, v2
	v_add_nc_u32_e32 v1, 3, v4
	v_add3_u32 v2, s11, v3, v6
.LBB71_54:                              ; =>This Inner Loop Header: Depth=1
	s_delay_alu instid0(VALU_DEP_2) | instskip(NEXT) | instid1(VALU_DEP_1)
	v_add_nc_u32_e32 v1, 1, v1
	v_lshlrev_b32_e32 v3, 3, v1
	v_cmp_lt_u32_e32 vcc_lo, 2, v1
	s_delay_alu instid0(VALU_DEP_2)
	v_lshrrev_b32_e32 v3, v3, v0
	s_or_b32 s0, vcc_lo, s0
	global_store_b8 v2, v3, s[4:5]
	v_add_nc_u32_e32 v2, 1, v2
	s_and_not1_b32 exec_lo, exec_lo, s0
	s_cbranch_execnz .LBB71_54
.LBB71_55:
	s_endpgm
	.section	.rodata,"a",@progbits
	.p2align	6, 0x0
	.amdhsa_kernel Transform_I8_S_101_16_16_VW_4
		.amdhsa_group_segment_fixed_size 0
		.amdhsa_private_segment_fixed_size 64
		.amdhsa_kernarg_size 344
		.amdhsa_user_sgpr_count 14
		.amdhsa_user_sgpr_dispatch_ptr 0
		.amdhsa_user_sgpr_queue_ptr 0
		.amdhsa_user_sgpr_kernarg_segment_ptr 1
		.amdhsa_user_sgpr_dispatch_id 0
		.amdhsa_user_sgpr_private_segment_size 0
		.amdhsa_wavefront_size32 1
		.amdhsa_uses_dynamic_stack 0
		.amdhsa_enable_private_segment 1
		.amdhsa_system_sgpr_workgroup_id_x 1
		.amdhsa_system_sgpr_workgroup_id_y 0
		.amdhsa_system_sgpr_workgroup_id_z 1
		.amdhsa_system_sgpr_workgroup_info 0
		.amdhsa_system_vgpr_workitem_id 0
		.amdhsa_next_free_vgpr 42
		.amdhsa_next_free_sgpr 34
		.amdhsa_reserve_vcc 1
		.amdhsa_float_round_mode_32 0
		.amdhsa_float_round_mode_16_64 0
		.amdhsa_float_denorm_mode_32 3
		.amdhsa_float_denorm_mode_16_64 3
		.amdhsa_dx10_clamp 1
		.amdhsa_ieee_mode 1
		.amdhsa_fp16_overflow 0
		.amdhsa_workgroup_processor_mode 1
		.amdhsa_memory_ordered 1
		.amdhsa_forward_progress 0
		.amdhsa_shared_vgpr_count 0
		.amdhsa_exception_fp_ieee_invalid_op 0
		.amdhsa_exception_fp_denorm_src 0
		.amdhsa_exception_fp_ieee_div_zero 0
		.amdhsa_exception_fp_ieee_overflow 0
		.amdhsa_exception_fp_ieee_underflow 0
		.amdhsa_exception_fp_ieee_inexact 0
		.amdhsa_exception_int_div_zero 0
	.end_amdhsa_kernel
	.text
.Lfunc_end71:
	.size	Transform_I8_S_101_16_16_VW_4, .Lfunc_end71-Transform_I8_S_101_16_16_VW_4
                                        ; -- End function
	.section	.AMDGPU.csdata,"",@progbits
; Kernel info:
; codeLenInByte = 1480
; NumSgprs: 36
; NumVgprs: 42
; ScratchSize: 64
; MemoryBound: 0
; FloatMode: 240
; IeeeMode: 1
; LDSByteSize: 0 bytes/workgroup (compile time only)
; SGPRBlocks: 4
; VGPRBlocks: 5
; NumSGPRsForWavesPerEU: 36
; NumVGPRsForWavesPerEU: 42
; Occupancy: 16
; WaveLimiterHint : 1
; COMPUTE_PGM_RSRC2:SCRATCH_EN: 1
; COMPUTE_PGM_RSRC2:USER_SGPR: 14
; COMPUTE_PGM_RSRC2:TRAP_HANDLER: 0
; COMPUTE_PGM_RSRC2:TGID_X_EN: 1
; COMPUTE_PGM_RSRC2:TGID_Y_EN: 0
; COMPUTE_PGM_RSRC2:TGID_Z_EN: 1
; COMPUTE_PGM_RSRC2:TIDIG_COMP_CNT: 0
	.text
	.protected	Transform_I8_S_100_16_16_VW_1 ; -- Begin function Transform_I8_S_100_16_16_VW_1
	.globl	Transform_I8_S_100_16_16_VW_1
	.p2align	8
	.type	Transform_I8_S_100_16_16_VW_1,@function
Transform_I8_S_100_16_16_VW_1:          ; @Transform_I8_S_100_16_16_VW_1
; %bb.0:
	s_mov_b64 s[22:23], s[0:1]
	s_load_b32 s0, s[0:1], 0x64
	v_mov_b32_e32 v41, v0
	s_mov_b32 s21, s15
	s_mov_b32 s24, s14
	;; [unrolled: 1-line block ×3, first 2 shown]
	s_waitcnt lgkmcnt(0)
	v_cmp_eq_u16_e64 s0, 0x100, s0
	s_delay_alu instid0(VALU_DEP_1)
	s_and_b32 vcc_lo, exec_lo, s0
	s_mov_b32 s0, -1
	s_cbranch_vccnz .LBB72_2
; %bb.1:
	s_add_u32 s8, s22, 0x58
	s_addc_u32 s9, s23, 0
	s_getpc_b64 s[0:1]
	s_add_u32 s0, s0, __PRETTY_FUNCTION__._ZN10amd_detail9transformIafLb1ELb0ELb0ELj16ELj16ELj1EEEvPT_PKS1_S4_T0_PKS5_S5_S7_jjjjjjbb@rel32@lo+4
	s_addc_u32 s1, s1, __PRETTY_FUNCTION__._ZN10amd_detail9transformIafLb1ELb0ELb0ELj16ELj16ELj1EEEvPT_PKS1_S4_T0_PKS5_S5_S7_jjjjjjbb@rel32@hi+12
	s_delay_alu instid0(SALU_CYCLE_1) | instskip(SKIP_3) | instid1(SALU_CYCLE_1)
	v_dual_mov_b32 v0, s0 :: v_dual_mov_b32 v1, s1
	s_getpc_b64 s[2:3]
	s_add_u32 s2, s2, __assert_fail@rel32@lo+4
	s_addc_u32 s3, s3, __assert_fail@rel32@hi+12
	s_swappc_b64 s[30:31], s[2:3]
	; divergent unreachable
	s_mov_b32 s0, 0
.LBB72_2:
	s_delay_alu instid0(SALU_CYCLE_1)
	s_and_not1_b32 vcc_lo, exec_lo, s0
	s_cbranch_vccnz .LBB72_14
; %bb.3:
	s_load_b256 s[0:7], s[22:23], 0x38
	s_waitcnt lgkmcnt(0)
	s_and_b32 s7, s0, 15
	s_lshr_b32 s8, s0, 4
	s_cmp_lg_u32 s7, 0
	s_cselect_b32 s7, -1, 0
	s_delay_alu instid0(SALU_CYCLE_1) | instskip(SKIP_4) | instid1(VALU_DEP_1)
	s_cmp_lg_u32 s7, 0
	s_addc_u32 s10, s8, 0
	s_load_b64 s[8:9], s[22:23], 0x20
	v_cvt_f32_u32_e32 v0, s10
	s_sub_i32 s11, 0, s10
	v_rcp_iflag_f32_e32 v0, v0
	s_waitcnt_depctr 0xfff
	v_mul_f32_e32 v0, 0x4f7ffffe, v0
	s_delay_alu instid0(VALU_DEP_1) | instskip(NEXT) | instid1(VALU_DEP_1)
	v_cvt_u32_f32_e32 v0, v0
	v_readfirstlane_b32 s7, v0
	s_delay_alu instid0(VALU_DEP_1) | instskip(NEXT) | instid1(SALU_CYCLE_1)
	s_mul_i32 s11, s11, s7
	s_mul_hi_u32 s11, s7, s11
	s_delay_alu instid0(SALU_CYCLE_1)
	s_add_i32 s7, s7, s11
	s_waitcnt lgkmcnt(0)
	s_cmp_eq_u64 s[8:9], 0
	s_mul_hi_u32 s11, s24, s7
	s_cbranch_scc1 .LBB72_6
; %bb.4:
	s_load_b32 s7, s[8:9], 0x0
	s_load_b64 s[8:9], s[22:23], 0x30
	s_waitcnt lgkmcnt(0)
	s_cmp_eq_u64 s[8:9], 0
	s_cbranch_scc1 .LBB72_7
.LBB72_5:
	s_load_b32 s12, s[8:9], 0x0
	s_branch .LBB72_8
.LBB72_6:
	s_clause 0x1
	s_load_b32 s7, s[22:23], 0x18
	s_load_b64 s[8:9], s[22:23], 0x30
	s_waitcnt lgkmcnt(0)
	s_cmp_eq_u64 s[8:9], 0
	s_cbranch_scc0 .LBB72_5
.LBB72_7:
	s_load_b32 s12, s[22:23], 0x28
.LBB72_8:
	s_mul_i32 s8, s11, s10
	s_add_i32 s9, s11, 1
	s_sub_i32 s8, s24, s8
	v_and_b32_e32 v0, 15, v41
	s_sub_i32 s13, s8, s10
	s_cmp_ge_u32 s8, s10
	v_lshrrev_b32_e32 v1, 4, v41
	s_cselect_b32 s9, s9, s11
	s_cselect_b32 s8, s13, s8
	s_add_i32 s11, s9, 1
	s_cmp_ge_u32 s8, s10
	s_cselect_b32 s8, s11, s9
	s_delay_alu instid0(SALU_CYCLE_1) | instskip(SKIP_2) | instid1(SALU_CYCLE_1)
	s_mul_i32 s9, s8, s10
	v_lshl_add_u32 v1, s8, 4, v1
	s_sub_i32 s9, s24, s9
	v_lshl_or_b32 v0, s9, 4, v0
	s_delay_alu instid0(VALU_DEP_1) | instskip(NEXT) | instid1(VALU_DEP_3)
	v_cmp_gt_u32_e32 vcc_lo, s0, v0
	v_cmp_gt_u32_e64 s0, s1, v1
	s_delay_alu instid0(VALU_DEP_1) | instskip(NEXT) | instid1(SALU_CYCLE_1)
	s_and_b32 s0, vcc_lo, s0
	s_and_saveexec_b32 s1, s0
	s_cbranch_execz .LBB72_14
; %bb.9:
	s_clause 0x1
	s_load_b128 s[8:11], s[22:23], 0x0
	s_load_b64 s[0:1], s[22:23], 0x10
	v_dual_mov_b32 v3, 0 :: v_dual_mov_b32 v2, 0
	s_mul_i32 s21, s21, s5
	s_waitcnt lgkmcnt(0)
	s_cmp_eq_u64 s[10:11], 0
	s_cbranch_scc1 .LBB72_11
; %bb.10:
	s_bitcmp1_b32 s6, 0
	s_cselect_b32 vcc_lo, -1, 0
	v_cndmask_b32_e32 v2, v0, v1, vcc_lo
	v_cndmask_b32_e32 v4, v1, v0, vcc_lo
	s_delay_alu instid0(VALU_DEP_2) | instskip(NEXT) | instid1(VALU_DEP_1)
	v_mul_lo_u32 v2, v2, s2
	v_add3_u32 v2, v4, s21, v2
	global_load_i8 v2, v2, s[10:11]
	s_waitcnt vmcnt(0)
	v_cvt_f32_i32_e32 v2, v2
.LBB72_11:
	s_cmp_eq_u64 s[0:1], 0
	s_cbranch_scc1 .LBB72_13
; %bb.12:
	s_load_b32 s2, s[22:23], 0x50
	s_waitcnt lgkmcnt(0)
	s_bitcmp1_b32 s2, 8
	s_cselect_b32 vcc_lo, -1, 0
	v_dual_cndmask_b32 v3, v1, v0 :: v_dual_cndmask_b32 v4, v0, v1
	s_delay_alu instid0(VALU_DEP_1) | instskip(NEXT) | instid1(VALU_DEP_1)
	v_mul_lo_u32 v3, v3, s3
	v_add3_u32 v3, v4, s21, v3
	global_load_i8 v3, v3, s[0:1]
	s_waitcnt vmcnt(0)
	v_cvt_f32_i32_e32 v3, v3
.LBB72_13:
	s_delay_alu instid0(VALU_DEP_1) | instskip(SKIP_1) | instid1(VALU_DEP_2)
	v_mul_f32_e32 v3, s12, v3
	v_mul_lo_u32 v1, v1, s4
	v_fmac_f32_e32 v3, s7, v2
	s_delay_alu instid0(VALU_DEP_2) | instskip(NEXT) | instid1(VALU_DEP_2)
	v_add3_u32 v0, v0, s21, v1
	v_cvt_i32_f32_e32 v2, v3
	global_store_b8 v0, v2, s[8:9]
.LBB72_14:
	s_endpgm
	.section	.rodata,"a",@progbits
	.p2align	6, 0x0
	.amdhsa_kernel Transform_I8_S_100_16_16_VW_1
		.amdhsa_group_segment_fixed_size 0
		.amdhsa_private_segment_fixed_size 64
		.amdhsa_kernarg_size 344
		.amdhsa_user_sgpr_count 14
		.amdhsa_user_sgpr_dispatch_ptr 0
		.amdhsa_user_sgpr_queue_ptr 0
		.amdhsa_user_sgpr_kernarg_segment_ptr 1
		.amdhsa_user_sgpr_dispatch_id 0
		.amdhsa_user_sgpr_private_segment_size 0
		.amdhsa_wavefront_size32 1
		.amdhsa_uses_dynamic_stack 0
		.amdhsa_enable_private_segment 1
		.amdhsa_system_sgpr_workgroup_id_x 1
		.amdhsa_system_sgpr_workgroup_id_y 0
		.amdhsa_system_sgpr_workgroup_id_z 1
		.amdhsa_system_sgpr_workgroup_info 0
		.amdhsa_system_vgpr_workitem_id 0
		.amdhsa_next_free_vgpr 42
		.amdhsa_next_free_sgpr 34
		.amdhsa_reserve_vcc 1
		.amdhsa_float_round_mode_32 0
		.amdhsa_float_round_mode_16_64 0
		.amdhsa_float_denorm_mode_32 3
		.amdhsa_float_denorm_mode_16_64 3
		.amdhsa_dx10_clamp 1
		.amdhsa_ieee_mode 1
		.amdhsa_fp16_overflow 0
		.amdhsa_workgroup_processor_mode 1
		.amdhsa_memory_ordered 1
		.amdhsa_forward_progress 0
		.amdhsa_shared_vgpr_count 0
		.amdhsa_exception_fp_ieee_invalid_op 0
		.amdhsa_exception_fp_denorm_src 0
		.amdhsa_exception_fp_ieee_div_zero 0
		.amdhsa_exception_fp_ieee_overflow 0
		.amdhsa_exception_fp_ieee_underflow 0
		.amdhsa_exception_fp_ieee_inexact 0
		.amdhsa_exception_int_div_zero 0
	.end_amdhsa_kernel
	.text
.Lfunc_end72:
	.size	Transform_I8_S_100_16_16_VW_1, .Lfunc_end72-Transform_I8_S_100_16_16_VW_1
                                        ; -- End function
	.section	.AMDGPU.csdata,"",@progbits
; Kernel info:
; codeLenInByte = 668
; NumSgprs: 36
; NumVgprs: 42
; ScratchSize: 64
; MemoryBound: 0
; FloatMode: 240
; IeeeMode: 1
; LDSByteSize: 0 bytes/workgroup (compile time only)
; SGPRBlocks: 4
; VGPRBlocks: 5
; NumSGPRsForWavesPerEU: 36
; NumVGPRsForWavesPerEU: 42
; Occupancy: 16
; WaveLimiterHint : 1
; COMPUTE_PGM_RSRC2:SCRATCH_EN: 1
; COMPUTE_PGM_RSRC2:USER_SGPR: 14
; COMPUTE_PGM_RSRC2:TRAP_HANDLER: 0
; COMPUTE_PGM_RSRC2:TGID_X_EN: 1
; COMPUTE_PGM_RSRC2:TGID_Y_EN: 0
; COMPUTE_PGM_RSRC2:TGID_Z_EN: 1
; COMPUTE_PGM_RSRC2:TIDIG_COMP_CNT: 0
	.text
	.protected	Transform_I8_S_100_16_16_VW_4 ; -- Begin function Transform_I8_S_100_16_16_VW_4
	.globl	Transform_I8_S_100_16_16_VW_4
	.p2align	8
	.type	Transform_I8_S_100_16_16_VW_4,@function
Transform_I8_S_100_16_16_VW_4:          ; @Transform_I8_S_100_16_16_VW_4
; %bb.0:
	s_mov_b64 s[22:23], s[0:1]
	s_load_b32 s0, s[0:1], 0x64
	v_mov_b32_e32 v41, v0
	s_mov_b32 s24, s15
	s_mov_b32 s21, s14
	;; [unrolled: 1-line block ×3, first 2 shown]
	s_waitcnt lgkmcnt(0)
	v_cmp_eq_u16_e64 s0, 0x100, s0
	s_delay_alu instid0(VALU_DEP_1)
	s_and_b32 vcc_lo, exec_lo, s0
	s_mov_b32 s0, -1
	s_cbranch_vccnz .LBB73_2
; %bb.1:
	s_add_u32 s8, s22, 0x58
	s_addc_u32 s9, s23, 0
	s_getpc_b64 s[0:1]
	s_add_u32 s0, s0, __PRETTY_FUNCTION__._ZN10amd_detail9transformIafLb1ELb0ELb0ELj16ELj16ELj4EEEvPT_PKS1_S4_T0_PKS5_S5_S7_jjjjjjbb@rel32@lo+4
	s_addc_u32 s1, s1, __PRETTY_FUNCTION__._ZN10amd_detail9transformIafLb1ELb0ELb0ELj16ELj16ELj4EEEvPT_PKS1_S4_T0_PKS5_S5_S7_jjjjjjbb@rel32@hi+12
	s_delay_alu instid0(SALU_CYCLE_1) | instskip(SKIP_3) | instid1(SALU_CYCLE_1)
	v_dual_mov_b32 v0, s0 :: v_dual_mov_b32 v1, s1
	s_getpc_b64 s[2:3]
	s_add_u32 s2, s2, __assert_fail@rel32@lo+4
	s_addc_u32 s3, s3, __assert_fail@rel32@hi+12
	s_swappc_b64 s[30:31], s[2:3]
	; divergent unreachable
	s_mov_b32 s0, 0
.LBB73_2:
	s_delay_alu instid0(SALU_CYCLE_1)
	s_and_not1_b32 vcc_lo, exec_lo, s0
	s_cbranch_vccnz .LBB73_55
; %bb.3:
	s_load_b256 s[4:11], s[22:23], 0x38
	s_waitcnt lgkmcnt(0)
	s_and_b32 s0, s4, 63
	s_lshr_b32 s1, s4, 6
	s_cmp_lg_u32 s0, 0
	s_cselect_b32 s0, -1, 0
	s_delay_alu instid0(SALU_CYCLE_1) | instskip(SKIP_4) | instid1(VALU_DEP_1)
	s_cmp_lg_u32 s0, 0
	s_addc_u32 s2, s1, 0
	s_load_b64 s[0:1], s[22:23], 0x20
	v_cvt_f32_u32_e32 v0, s2
	s_sub_i32 s11, 0, s2
	v_rcp_iflag_f32_e32 v0, v0
	s_waitcnt_depctr 0xfff
	v_mul_f32_e32 v0, 0x4f7ffffe, v0
	s_delay_alu instid0(VALU_DEP_1) | instskip(NEXT) | instid1(VALU_DEP_1)
	v_cvt_u32_f32_e32 v0, v0
	v_readfirstlane_b32 s3, v0
	s_delay_alu instid0(VALU_DEP_1) | instskip(NEXT) | instid1(SALU_CYCLE_1)
	s_mul_i32 s11, s11, s3
	s_mul_hi_u32 s11, s3, s11
	s_delay_alu instid0(SALU_CYCLE_1)
	s_add_i32 s3, s3, s11
	s_waitcnt lgkmcnt(0)
	s_cmp_eq_u64 s[0:1], 0
	s_mul_hi_u32 s3, s21, s3
	s_cbranch_scc1 .LBB73_6
; %bb.4:
	s_load_b32 s11, s[0:1], 0x0
	s_load_b64 s[0:1], s[22:23], 0x30
	s_waitcnt lgkmcnt(0)
	s_cmp_eq_u64 s[0:1], 0
	s_cbranch_scc1 .LBB73_7
.LBB73_5:
	s_load_b32 s16, s[0:1], 0x0
	s_branch .LBB73_8
.LBB73_6:
	s_clause 0x1
	s_load_b32 s11, s[22:23], 0x18
	s_load_b64 s[0:1], s[22:23], 0x30
	s_waitcnt lgkmcnt(0)
	s_cmp_eq_u64 s[0:1], 0
	s_cbranch_scc0 .LBB73_5
.LBB73_7:
	s_load_b32 s16, s[22:23], 0x28
.LBB73_8:
	s_mul_i32 s0, s3, s2
	s_add_i32 s1, s3, 1
	s_sub_i32 s0, s21, s0
	v_lshrrev_b32_e32 v0, 4, v41
	s_sub_i32 s12, s0, s2
	s_cmp_ge_u32 s0, s2
	s_cselect_b32 s1, s1, s3
	s_cselect_b32 s0, s12, s0
	s_add_i32 s3, s1, 1
	s_cmp_ge_u32 s0, s2
	s_mov_b32 s0, exec_lo
	s_cselect_b32 s1, s3, s1
	s_delay_alu instid0(SALU_CYCLE_1) | instskip(NEXT) | instid1(VALU_DEP_1)
	v_lshl_add_u32 v0, s1, 4, v0
	v_cmpx_gt_u32_e64 s5, v0
	s_cbranch_execz .LBB73_55
; %bb.9:
	v_dual_mov_b32 v12, 0 :: v_dual_lshlrev_b32 v1, 2, v41
	s_mul_i32 s1, s1, s2
	s_clause 0x1
	s_load_b128 s[12:15], s[22:23], 0x0
	s_load_b64 s[2:3], s[22:23], 0x10
	v_and_b32_e32 v7, 60, v1
	s_sub_i32 s0, s21, s1
	s_bitcmp1_b32 s10, 0
	s_mul_i32 s24, s24, s9
	s_cselect_b32 vcc_lo, -1, 0
	v_lshl_or_b32 v9, s0, 6, v7
	s_delay_alu instid0(VALU_DEP_1) | instskip(NEXT) | instid1(VALU_DEP_1)
	v_dual_mov_b32 v11, 0 :: v_dual_add_nc_u32 v10, 4, v9
	v_sub_nc_u32_e64 v8, v10, s4 clamp
	s_waitcnt lgkmcnt(0)
	s_cmp_lg_u64 s[14:15], 0
	s_cselect_b32 s5, -1, 0
	s_delay_alu instid0(VALU_DEP_1) | instskip(SKIP_1) | instid1(VALU_DEP_1)
	v_sub_nc_u32_e32 v3, v9, v8
	s_cmp_eq_u64 s[14:15], 0
	v_mad_u64_u32 v[1:2], null, v0, s6, v[3:4]
	s_cbranch_scc1 .LBB73_11
; %bb.10:
	s_delay_alu instid0(VALU_DEP_1) | instskip(NEXT) | instid1(VALU_DEP_1)
	v_mad_u64_u32 v[4:5], null, v3, s6, v[0:1]
	v_cndmask_b32_e32 v2, v4, v1, vcc_lo
	s_delay_alu instid0(VALU_DEP_1)
	v_add_nc_u32_e32 v2, s24, v2
	global_load_i8 v2, v2, s[14:15]
	s_waitcnt vmcnt(0)
	v_cvt_f32_i32_e32 v11, v2
.LBB73_11:
	s_load_b32 s0, s[22:23], 0x50
	v_mad_u64_u32 v[4:5], null, v0, s7, v[3:4]
	v_mul_lo_u32 v13, v3, s7
	s_xor_b32 s10, vcc_lo, -1
	s_waitcnt lgkmcnt(0)
	s_bitcmp1_b32 s0, 8
	s_cselect_b32 s0, -1, 0
	s_cmp_lg_u64 s[2:3], 0
	s_cselect_b32 s9, -1, 0
	s_cmp_eq_u64 s[2:3], 0
	s_cbranch_scc1 .LBB73_13
; %bb.12:
	v_add_nc_u32_e32 v2, v13, v0
	s_delay_alu instid0(VALU_DEP_1) | instskip(NEXT) | instid1(VALU_DEP_1)
	v_cndmask_b32_e64 v2, v4, v2, s0
	v_add_nc_u32_e32 v2, s24, v2
	global_load_i8 v2, v2, s[2:3]
	s_waitcnt vmcnt(0)
	v_cvt_f32_i32_e32 v12, v2
.LBB73_13:
	v_cndmask_b32_e64 v2, 0, 1, s10
	s_and_not1_b32 vcc_lo, exec_lo, s10
	s_cbranch_vccnz .LBB73_15
; %bb.14:
	v_mul_lo_u32 v5, s6, v3
	s_delay_alu instid0(VALU_DEP_1)
	v_add3_u32 v5, v5, s6, v0
	s_xor_b32 s0, s0, -1
	s_cbranch_execz .LBB73_16
	s_branch .LBB73_17
.LBB73_15:
                                        ; implicit-def: $vgpr5
	s_xor_b32 s0, s0, -1
.LBB73_16:
	v_add_nc_u32_e32 v5, 1, v1
.LBB73_17:
	v_cndmask_b32_e64 v16, 0, 1, s0
	s_and_not1_b32 vcc_lo, exec_lo, s0
	s_cbranch_vccnz .LBB73_19
; %bb.18:
	v_add_nc_u32_e32 v6, 1, v4
	s_cbranch_execz .LBB73_20
	s_branch .LBB73_21
.LBB73_19:
                                        ; implicit-def: $vgpr6
.LBB73_20:
	v_add3_u32 v6, v13, s7, v0
.LBB73_21:
	v_cndmask_b32_e64 v17, 0, 1, s5
	v_dual_mov_b32 v15, 0 :: v_dual_mov_b32 v14, 0
	s_and_not1_b32 vcc_lo, exec_lo, s5
	s_cbranch_vccnz .LBB73_23
; %bb.22:
	v_add_nc_u32_e32 v5, s24, v5
	global_load_i8 v5, v5, s[14:15]
	s_waitcnt vmcnt(0)
	v_cvt_f32_i32_e32 v14, v5
.LBB73_23:
	v_cndmask_b32_e64 v18, 0, 1, s9
	s_and_not1_b32 vcc_lo, exec_lo, s9
	s_cbranch_vccnz .LBB73_25
; %bb.24:
	v_add_nc_u32_e32 v5, s24, v6
	global_load_i8 v5, v5, s[2:3]
	s_waitcnt vmcnt(0)
	v_cvt_f32_i32_e32 v15, v5
.LBB73_25:
	v_cmp_ne_u32_e32 vcc_lo, 1, v2
	s_cbranch_vccnz .LBB73_27
; %bb.26:
	v_add_nc_u32_e32 v19, 2, v3
	s_delay_alu instid0(VALU_DEP_1)
	v_mad_u64_u32 v[5:6], null, v19, s6, v[0:1]
	s_cbranch_execz .LBB73_28
	s_branch .LBB73_29
.LBB73_27:
                                        ; implicit-def: $vgpr5
.LBB73_28:
	v_add_nc_u32_e32 v5, 2, v1
.LBB73_29:
	v_cmp_ne_u32_e32 vcc_lo, 1, v16
	s_cbranch_vccnz .LBB73_31
; %bb.30:
	v_add_nc_u32_e32 v20, 2, v4
	s_cbranch_execz .LBB73_32
	s_branch .LBB73_33
.LBB73_31:
                                        ; implicit-def: $vgpr20
.LBB73_32:
	s_lshl_b32 s0, s7, 1
	s_delay_alu instid0(SALU_CYCLE_1)
	v_add3_u32 v20, v13, s0, v0
.LBB73_33:
	v_cmp_ne_u32_e32 vcc_lo, 1, v17
	v_dual_mov_b32 v19, 0 :: v_dual_mov_b32 v6, 0
	s_cbranch_vccnz .LBB73_35
; %bb.34:
	v_add_nc_u32_e32 v5, s24, v5
	global_load_i8 v5, v5, s[14:15]
	s_waitcnt vmcnt(0)
	v_cvt_f32_i32_e32 v6, v5
.LBB73_35:
	v_cmp_ne_u32_e32 vcc_lo, 1, v18
	s_cbranch_vccnz .LBB73_37
; %bb.36:
	v_add_nc_u32_e32 v5, s24, v20
	global_load_i8 v5, v5, s[2:3]
	s_waitcnt vmcnt(0)
	v_cvt_f32_i32_e32 v19, v5
.LBB73_37:
	v_cmp_ne_u32_e32 vcc_lo, 1, v2
	s_cbranch_vccnz .LBB73_39
; %bb.38:
	v_add_nc_u32_e32 v5, 3, v3
	s_delay_alu instid0(VALU_DEP_1)
	v_mad_u64_u32 v[2:3], null, v5, s6, v[0:1]
	s_cbranch_execz .LBB73_40
	s_branch .LBB73_41
.LBB73_39:
                                        ; implicit-def: $vgpr2
.LBB73_40:
	v_add_nc_u32_e32 v2, 3, v1
.LBB73_41:
	v_cmp_ne_u32_e32 vcc_lo, 1, v16
	s_cbranch_vccnz .LBB73_43
; %bb.42:
	v_add_nc_u32_e32 v3, 3, v4
	s_cbranch_execz .LBB73_44
	s_branch .LBB73_45
.LBB73_43:
                                        ; implicit-def: $vgpr3
.LBB73_44:
	s_mul_i32 s0, s7, 3
	s_delay_alu instid0(SALU_CYCLE_1)
	v_add3_u32 v3, v13, s0, v0
.LBB73_45:
	v_cmp_ne_u32_e32 vcc_lo, 1, v17
	v_dual_mov_b32 v4, 0 :: v_dual_mov_b32 v1, 0
	s_cbranch_vccnz .LBB73_47
; %bb.46:
	v_add_nc_u32_e32 v1, s24, v2
	global_load_i8 v1, v1, s[14:15]
	s_waitcnt vmcnt(0)
	v_cvt_f32_i32_e32 v1, v1
.LBB73_47:
	v_cmp_ne_u32_e32 vcc_lo, 1, v18
	s_cbranch_vccnz .LBB73_49
; %bb.48:
	v_add_nc_u32_e32 v2, s24, v3
	global_load_i8 v2, v2, s[2:3]
	s_waitcnt vmcnt(0)
	v_cvt_f32_i32_e32 v4, v2
.LBB73_49:
	v_dual_mul_f32 v2, s16, v12 :: v_dual_mul_f32 v3, s16, v15
	s_delay_alu instid0(VALU_DEP_2) | instskip(SKIP_1) | instid1(VALU_DEP_3)
	v_dual_mul_f32 v5, s16, v19 :: v_dual_mul_f32 v12, s16, v4
	v_mul_lo_u32 v0, v0, s8
	v_dual_fmac_f32 v2, s11, v11 :: v_dual_fmac_f32 v3, s11, v14
	s_delay_alu instid0(VALU_DEP_3) | instskip(SKIP_1) | instid1(VALU_DEP_2)
	v_dual_fmac_f32 v5, s11, v6 :: v_dual_fmac_f32 v12, s11, v1
	s_mov_b32 s0, exec_lo
	v_cvt_i32_f32_e32 v2, v2
	s_delay_alu instid0(VALU_DEP_3) | instskip(NEXT) | instid1(VALU_DEP_3)
	v_cvt_i32_f32_e32 v1, v3
	v_cvt_i32_f32_e32 v4, v5
	;; [unrolled: 1-line block ×3, first 2 shown]
	v_cmpx_ge_u32_e64 s4, v10
	s_xor_b32 s0, exec_lo, s0
; %bb.50:
	v_add_nc_u32_e32 v5, s24, v9
	s_delay_alu instid0(VALU_DEP_1) | instskip(NEXT) | instid1(VALU_DEP_1)
	v_sub_nc_u32_e32 v5, v5, v8
                                        ; implicit-def: $vgpr8
	v_add_nc_u32_e32 v0, v5, v0
	s_delay_alu instid0(VALU_DEP_1)
	v_add_nc_u32_e32 v5, 1, v0
	v_add_nc_u32_e32 v6, 2, v0
	;; [unrolled: 1-line block ×3, first 2 shown]
	s_clause 0x3
	global_store_b8 v0, v2, s[12:13]
	global_store_b8 v5, v1, s[12:13]
	;; [unrolled: 1-line block ×4, first 2 shown]
                                        ; implicit-def: $vgpr1
                                        ; implicit-def: $vgpr2
                                        ; implicit-def: $vgpr3
                                        ; implicit-def: $vgpr4
                                        ; implicit-def: $vgpr7
                                        ; implicit-def: $vgpr0
; %bb.51:
	s_and_not1_saveexec_b32 s0, s0
	s_cbranch_execz .LBB73_55
; %bb.52:
	v_cmp_gt_u32_e32 vcc_lo, 4, v8
	s_and_b32 exec_lo, exec_lo, vcc_lo
	s_cbranch_execz .LBB73_55
; %bb.53:
	v_lshl_or_b32 v5, s21, 6, v7
	s_lshl_b32 s0, s1, 6
	v_lshlrev_b16 v1, 8, v1
	v_and_b32_e32 v2, 0xff, v2
	v_lshlrev_b16 v3, 8, v3
	v_subrev_nc_u32_e32 v6, s0, v5
	v_and_b32_e32 v4, 0xff, v4
	s_delay_alu instid0(VALU_DEP_4) | instskip(NEXT) | instid1(VALU_DEP_3)
	v_or_b32_e32 v1, v2, v1
	v_add_nc_u32_e32 v7, 4, v6
	s_delay_alu instid0(VALU_DEP_3) | instskip(SKIP_1) | instid1(VALU_DEP_4)
	v_or_b32_e32 v2, v4, v3
	v_add3_u32 v4, s24, v0, v5
	v_and_b32_e32 v1, 0xffff, v1
	s_delay_alu instid0(VALU_DEP_4) | instskip(NEXT) | instid1(VALU_DEP_4)
	v_min_u32_e32 v3, s4, v7
	v_lshlrev_b32_e32 v2, 16, v2
	s_delay_alu instid0(VALU_DEP_2) | instskip(NEXT) | instid1(VALU_DEP_2)
	v_sub_nc_u32_e32 v3, v6, v3
	v_or_b32_e32 v0, v1, v2
	v_subrev_nc_u32_e32 v2, s0, v4
	s_mov_b32 s0, 0
	s_delay_alu instid0(VALU_DEP_3)
	v_add_nc_u32_e32 v1, 3, v3
.LBB73_54:                              ; =>This Inner Loop Header: Depth=1
	s_delay_alu instid0(VALU_DEP_1) | instskip(NEXT) | instid1(VALU_DEP_1)
	v_add_nc_u32_e32 v1, 1, v1
	v_lshlrev_b32_e32 v3, 3, v1
	v_cmp_lt_u32_e32 vcc_lo, 2, v1
	s_delay_alu instid0(VALU_DEP_2)
	v_lshrrev_b32_e32 v3, v3, v0
	s_or_b32 s0, vcc_lo, s0
	global_store_b8 v2, v3, s[12:13]
	v_add_nc_u32_e32 v2, 1, v2
	s_and_not1_b32 exec_lo, exec_lo, s0
	s_cbranch_execnz .LBB73_54
.LBB73_55:
	s_endpgm
	.section	.rodata,"a",@progbits
	.p2align	6, 0x0
	.amdhsa_kernel Transform_I8_S_100_16_16_VW_4
		.amdhsa_group_segment_fixed_size 0
		.amdhsa_private_segment_fixed_size 64
		.amdhsa_kernarg_size 344
		.amdhsa_user_sgpr_count 14
		.amdhsa_user_sgpr_dispatch_ptr 0
		.amdhsa_user_sgpr_queue_ptr 0
		.amdhsa_user_sgpr_kernarg_segment_ptr 1
		.amdhsa_user_sgpr_dispatch_id 0
		.amdhsa_user_sgpr_private_segment_size 0
		.amdhsa_wavefront_size32 1
		.amdhsa_uses_dynamic_stack 0
		.amdhsa_enable_private_segment 1
		.amdhsa_system_sgpr_workgroup_id_x 1
		.amdhsa_system_sgpr_workgroup_id_y 0
		.amdhsa_system_sgpr_workgroup_id_z 1
		.amdhsa_system_sgpr_workgroup_info 0
		.amdhsa_system_vgpr_workitem_id 0
		.amdhsa_next_free_vgpr 42
		.amdhsa_next_free_sgpr 34
		.amdhsa_reserve_vcc 1
		.amdhsa_float_round_mode_32 0
		.amdhsa_float_round_mode_16_64 0
		.amdhsa_float_denorm_mode_32 3
		.amdhsa_float_denorm_mode_16_64 3
		.amdhsa_dx10_clamp 1
		.amdhsa_ieee_mode 1
		.amdhsa_fp16_overflow 0
		.amdhsa_workgroup_processor_mode 1
		.amdhsa_memory_ordered 1
		.amdhsa_forward_progress 0
		.amdhsa_shared_vgpr_count 0
		.amdhsa_exception_fp_ieee_invalid_op 0
		.amdhsa_exception_fp_denorm_src 0
		.amdhsa_exception_fp_ieee_div_zero 0
		.amdhsa_exception_fp_ieee_overflow 0
		.amdhsa_exception_fp_ieee_underflow 0
		.amdhsa_exception_fp_ieee_inexact 0
		.amdhsa_exception_int_div_zero 0
	.end_amdhsa_kernel
	.text
.Lfunc_end73:
	.size	Transform_I8_S_100_16_16_VW_4, .Lfunc_end73-Transform_I8_S_100_16_16_VW_4
                                        ; -- End function
	.section	.AMDGPU.csdata,"",@progbits
; Kernel info:
; codeLenInByte = 1456
; NumSgprs: 36
; NumVgprs: 42
; ScratchSize: 64
; MemoryBound: 0
; FloatMode: 240
; IeeeMode: 1
; LDSByteSize: 0 bytes/workgroup (compile time only)
; SGPRBlocks: 4
; VGPRBlocks: 5
; NumSGPRsForWavesPerEU: 36
; NumVGPRsForWavesPerEU: 42
; Occupancy: 16
; WaveLimiterHint : 1
; COMPUTE_PGM_RSRC2:SCRATCH_EN: 1
; COMPUTE_PGM_RSRC2:USER_SGPR: 14
; COMPUTE_PGM_RSRC2:TRAP_HANDLER: 0
; COMPUTE_PGM_RSRC2:TGID_X_EN: 1
; COMPUTE_PGM_RSRC2:TGID_Y_EN: 0
; COMPUTE_PGM_RSRC2:TGID_Z_EN: 1
; COMPUTE_PGM_RSRC2:TIDIG_COMP_CNT: 0
	.text
	.protected	Transform_I8_S_011_16_16_VW_1 ; -- Begin function Transform_I8_S_011_16_16_VW_1
	.globl	Transform_I8_S_011_16_16_VW_1
	.p2align	8
	.type	Transform_I8_S_011_16_16_VW_1,@function
Transform_I8_S_011_16_16_VW_1:          ; @Transform_I8_S_011_16_16_VW_1
; %bb.0:
	s_mov_b64 s[22:23], s[0:1]
	s_load_b32 s0, s[0:1], 0x64
	v_mov_b32_e32 v41, v0
	s_mov_b32 s21, s15
	s_mov_b32 s24, s14
	s_mov_b32 s32, 0
	s_waitcnt lgkmcnt(0)
	v_cmp_eq_u16_e64 s0, 0x100, s0
	s_delay_alu instid0(VALU_DEP_1)
	s_and_b32 vcc_lo, exec_lo, s0
	s_mov_b32 s0, -1
	s_cbranch_vccnz .LBB74_2
; %bb.1:
	s_add_u32 s8, s22, 0x58
	s_addc_u32 s9, s23, 0
	s_getpc_b64 s[0:1]
	s_add_u32 s0, s0, __PRETTY_FUNCTION__._ZN10amd_detail9transformIafLb0ELb1ELb1ELj16ELj16ELj1EEEvPT_PKS1_S4_T0_PKS5_S5_S7_jjjjjjbb@rel32@lo+4
	s_addc_u32 s1, s1, __PRETTY_FUNCTION__._ZN10amd_detail9transformIafLb0ELb1ELb1ELj16ELj16ELj1EEEvPT_PKS1_S4_T0_PKS5_S5_S7_jjjjjjbb@rel32@hi+12
	s_delay_alu instid0(SALU_CYCLE_1) | instskip(SKIP_3) | instid1(SALU_CYCLE_1)
	v_dual_mov_b32 v0, s0 :: v_dual_mov_b32 v1, s1
	s_getpc_b64 s[2:3]
	s_add_u32 s2, s2, __assert_fail@rel32@lo+4
	s_addc_u32 s3, s3, __assert_fail@rel32@hi+12
	s_swappc_b64 s[30:31], s[2:3]
	; divergent unreachable
	s_mov_b32 s0, 0
.LBB74_2:
	s_delay_alu instid0(SALU_CYCLE_1)
	s_and_not1_b32 vcc_lo, exec_lo, s0
	s_cbranch_vccnz .LBB74_14
; %bb.3:
	s_load_b256 s[0:7], s[22:23], 0x38
	s_waitcnt lgkmcnt(0)
	s_and_b32 s7, s0, 15
	s_lshr_b32 s8, s0, 4
	s_cmp_lg_u32 s7, 0
	s_cselect_b32 s7, -1, 0
	s_delay_alu instid0(SALU_CYCLE_1) | instskip(SKIP_4) | instid1(VALU_DEP_1)
	s_cmp_lg_u32 s7, 0
	s_addc_u32 s10, s8, 0
	s_load_b64 s[8:9], s[22:23], 0x20
	v_cvt_f32_u32_e32 v0, s10
	s_sub_i32 s11, 0, s10
	v_rcp_iflag_f32_e32 v0, v0
	s_waitcnt_depctr 0xfff
	v_mul_f32_e32 v0, 0x4f7ffffe, v0
	s_delay_alu instid0(VALU_DEP_1) | instskip(NEXT) | instid1(VALU_DEP_1)
	v_cvt_u32_f32_e32 v0, v0
	v_readfirstlane_b32 s7, v0
	s_delay_alu instid0(VALU_DEP_1) | instskip(NEXT) | instid1(SALU_CYCLE_1)
	s_mul_i32 s11, s11, s7
	s_mul_hi_u32 s11, s7, s11
	s_delay_alu instid0(SALU_CYCLE_1)
	s_add_i32 s7, s7, s11
	s_waitcnt lgkmcnt(0)
	s_cmp_eq_u64 s[8:9], 0
	s_mul_hi_u32 s11, s24, s7
	s_cbranch_scc1 .LBB74_6
; %bb.4:
	s_load_b32 s7, s[8:9], 0x0
	s_load_b64 s[8:9], s[22:23], 0x30
	s_waitcnt lgkmcnt(0)
	s_cmp_eq_u64 s[8:9], 0
	s_cbranch_scc1 .LBB74_7
.LBB74_5:
	s_load_b32 s12, s[8:9], 0x0
	s_branch .LBB74_8
.LBB74_6:
	s_clause 0x1
	s_load_b32 s7, s[22:23], 0x18
	s_load_b64 s[8:9], s[22:23], 0x30
	s_waitcnt lgkmcnt(0)
	s_cmp_eq_u64 s[8:9], 0
	s_cbranch_scc0 .LBB74_5
.LBB74_7:
	s_load_b32 s12, s[22:23], 0x28
.LBB74_8:
	s_mul_i32 s8, s11, s10
	s_add_i32 s9, s11, 1
	s_sub_i32 s8, s24, s8
	v_and_b32_e32 v0, 15, v41
	s_sub_i32 s13, s8, s10
	s_cmp_ge_u32 s8, s10
	v_lshrrev_b32_e32 v2, 4, v41
	s_cselect_b32 s9, s9, s11
	s_cselect_b32 s8, s13, s8
	s_add_i32 s11, s9, 1
	s_cmp_ge_u32 s8, s10
	s_cselect_b32 s8, s11, s9
	s_delay_alu instid0(SALU_CYCLE_1) | instskip(NEXT) | instid1(SALU_CYCLE_1)
	s_mul_i32 s9, s8, s10
	s_sub_i32 s9, s24, s9
	s_delay_alu instid0(SALU_CYCLE_1) | instskip(SKIP_1) | instid1(VALU_DEP_2)
	v_lshl_or_b32 v1, s9, 4, v0
	v_lshl_add_u32 v0, s8, 4, v2
	v_cmp_gt_u32_e32 vcc_lo, s0, v1
	s_delay_alu instid0(VALU_DEP_2) | instskip(NEXT) | instid1(VALU_DEP_1)
	v_cmp_gt_u32_e64 s0, s1, v0
	s_and_b32 s0, vcc_lo, s0
	s_delay_alu instid0(SALU_CYCLE_1)
	s_and_saveexec_b32 s1, s0
	s_cbranch_execz .LBB74_14
; %bb.9:
	s_clause 0x1
	s_load_b128 s[8:11], s[22:23], 0x0
	s_load_b64 s[0:1], s[22:23], 0x10
	v_dual_mov_b32 v3, 0 :: v_dual_mov_b32 v2, 0
	s_mul_i32 s21, s21, s5
	s_waitcnt lgkmcnt(0)
	s_cmp_eq_u64 s[10:11], 0
	s_cbranch_scc1 .LBB74_11
; %bb.10:
	s_bitcmp1_b32 s6, 0
	s_cselect_b32 vcc_lo, -1, 0
	v_cndmask_b32_e32 v2, v0, v1, vcc_lo
	v_cndmask_b32_e32 v4, v1, v0, vcc_lo
	s_delay_alu instid0(VALU_DEP_2) | instskip(NEXT) | instid1(VALU_DEP_1)
	v_mul_lo_u32 v2, v2, s2
	v_add3_u32 v2, v4, s21, v2
	global_load_i8 v2, v2, s[10:11]
	s_waitcnt vmcnt(0)
	v_cvt_f32_i32_e32 v2, v2
.LBB74_11:
	s_cmp_eq_u64 s[0:1], 0
	s_cbranch_scc1 .LBB74_13
; %bb.12:
	s_load_b32 s2, s[22:23], 0x50
	s_waitcnt lgkmcnt(0)
	s_bitcmp1_b32 s2, 8
	s_cselect_b32 vcc_lo, -1, 0
	v_dual_cndmask_b32 v3, v1, v0 :: v_dual_cndmask_b32 v4, v0, v1
	s_delay_alu instid0(VALU_DEP_1) | instskip(NEXT) | instid1(VALU_DEP_1)
	v_mul_lo_u32 v3, v3, s3
	v_add3_u32 v3, v4, s21, v3
	global_load_i8 v3, v3, s[0:1]
	s_waitcnt vmcnt(0)
	v_cvt_f32_i32_e32 v3, v3
.LBB74_13:
	s_delay_alu instid0(VALU_DEP_1) | instskip(SKIP_1) | instid1(VALU_DEP_2)
	v_mul_f32_e32 v3, s12, v3
	v_mul_lo_u32 v1, v1, s4
	v_fmac_f32_e32 v3, s7, v2
	s_delay_alu instid0(VALU_DEP_2) | instskip(NEXT) | instid1(VALU_DEP_2)
	v_add3_u32 v0, v0, s21, v1
	v_cvt_i32_f32_e32 v2, v3
	global_store_b8 v0, v2, s[8:9]
.LBB74_14:
	s_endpgm
	.section	.rodata,"a",@progbits
	.p2align	6, 0x0
	.amdhsa_kernel Transform_I8_S_011_16_16_VW_1
		.amdhsa_group_segment_fixed_size 0
		.amdhsa_private_segment_fixed_size 64
		.amdhsa_kernarg_size 344
		.amdhsa_user_sgpr_count 14
		.amdhsa_user_sgpr_dispatch_ptr 0
		.amdhsa_user_sgpr_queue_ptr 0
		.amdhsa_user_sgpr_kernarg_segment_ptr 1
		.amdhsa_user_sgpr_dispatch_id 0
		.amdhsa_user_sgpr_private_segment_size 0
		.amdhsa_wavefront_size32 1
		.amdhsa_uses_dynamic_stack 0
		.amdhsa_enable_private_segment 1
		.amdhsa_system_sgpr_workgroup_id_x 1
		.amdhsa_system_sgpr_workgroup_id_y 0
		.amdhsa_system_sgpr_workgroup_id_z 1
		.amdhsa_system_sgpr_workgroup_info 0
		.amdhsa_system_vgpr_workitem_id 0
		.amdhsa_next_free_vgpr 42
		.amdhsa_next_free_sgpr 34
		.amdhsa_reserve_vcc 1
		.amdhsa_float_round_mode_32 0
		.amdhsa_float_round_mode_16_64 0
		.amdhsa_float_denorm_mode_32 3
		.amdhsa_float_denorm_mode_16_64 3
		.amdhsa_dx10_clamp 1
		.amdhsa_ieee_mode 1
		.amdhsa_fp16_overflow 0
		.amdhsa_workgroup_processor_mode 1
		.amdhsa_memory_ordered 1
		.amdhsa_forward_progress 0
		.amdhsa_shared_vgpr_count 0
		.amdhsa_exception_fp_ieee_invalid_op 0
		.amdhsa_exception_fp_denorm_src 0
		.amdhsa_exception_fp_ieee_div_zero 0
		.amdhsa_exception_fp_ieee_overflow 0
		.amdhsa_exception_fp_ieee_underflow 0
		.amdhsa_exception_fp_ieee_inexact 0
		.amdhsa_exception_int_div_zero 0
	.end_amdhsa_kernel
	.text
.Lfunc_end74:
	.size	Transform_I8_S_011_16_16_VW_1, .Lfunc_end74-Transform_I8_S_011_16_16_VW_1
                                        ; -- End function
	.section	.AMDGPU.csdata,"",@progbits
; Kernel info:
; codeLenInByte = 672
; NumSgprs: 36
; NumVgprs: 42
; ScratchSize: 64
; MemoryBound: 0
; FloatMode: 240
; IeeeMode: 1
; LDSByteSize: 0 bytes/workgroup (compile time only)
; SGPRBlocks: 4
; VGPRBlocks: 5
; NumSGPRsForWavesPerEU: 36
; NumVGPRsForWavesPerEU: 42
; Occupancy: 16
; WaveLimiterHint : 1
; COMPUTE_PGM_RSRC2:SCRATCH_EN: 1
; COMPUTE_PGM_RSRC2:USER_SGPR: 14
; COMPUTE_PGM_RSRC2:TRAP_HANDLER: 0
; COMPUTE_PGM_RSRC2:TGID_X_EN: 1
; COMPUTE_PGM_RSRC2:TGID_Y_EN: 0
; COMPUTE_PGM_RSRC2:TGID_Z_EN: 1
; COMPUTE_PGM_RSRC2:TIDIG_COMP_CNT: 0
	.text
	.protected	Transform_I8_S_011_16_16_VW_4 ; -- Begin function Transform_I8_S_011_16_16_VW_4
	.globl	Transform_I8_S_011_16_16_VW_4
	.p2align	8
	.type	Transform_I8_S_011_16_16_VW_4,@function
Transform_I8_S_011_16_16_VW_4:          ; @Transform_I8_S_011_16_16_VW_4
; %bb.0:
	s_mov_b64 s[22:23], s[0:1]
	s_load_b32 s0, s[0:1], 0x64
	v_mov_b32_e32 v41, v0
	s_mov_b32 s24, s15
	s_mov_b32 s21, s14
	;; [unrolled: 1-line block ×3, first 2 shown]
	s_waitcnt lgkmcnt(0)
	v_cmp_eq_u16_e64 s0, 0x100, s0
	s_delay_alu instid0(VALU_DEP_1)
	s_and_b32 vcc_lo, exec_lo, s0
	s_mov_b32 s0, -1
	s_cbranch_vccnz .LBB75_2
; %bb.1:
	s_add_u32 s8, s22, 0x58
	s_addc_u32 s9, s23, 0
	s_getpc_b64 s[0:1]
	s_add_u32 s0, s0, __PRETTY_FUNCTION__._ZN10amd_detail9transformIafLb0ELb1ELb1ELj16ELj16ELj4EEEvPT_PKS1_S4_T0_PKS5_S5_S7_jjjjjjbb@rel32@lo+4
	s_addc_u32 s1, s1, __PRETTY_FUNCTION__._ZN10amd_detail9transformIafLb0ELb1ELb1ELj16ELj16ELj4EEEvPT_PKS1_S4_T0_PKS5_S5_S7_jjjjjjbb@rel32@hi+12
	s_delay_alu instid0(SALU_CYCLE_1) | instskip(SKIP_3) | instid1(SALU_CYCLE_1)
	v_dual_mov_b32 v0, s0 :: v_dual_mov_b32 v1, s1
	s_getpc_b64 s[2:3]
	s_add_u32 s2, s2, __assert_fail@rel32@lo+4
	s_addc_u32 s3, s3, __assert_fail@rel32@hi+12
	s_swappc_b64 s[30:31], s[2:3]
	; divergent unreachable
	s_mov_b32 s0, 0
.LBB75_2:
	s_delay_alu instid0(SALU_CYCLE_1)
	s_and_not1_b32 vcc_lo, exec_lo, s0
	s_cbranch_vccnz .LBB75_55
; %bb.3:
	s_load_b128 s[0:3], s[22:23], 0x38
	s_waitcnt lgkmcnt(0)
	s_and_b32 s4, s0, 15
	s_lshr_b32 s5, s0, 4
	s_cmp_lg_u32 s4, 0
	s_cselect_b32 s4, -1, 0
	s_delay_alu instid0(SALU_CYCLE_1) | instskip(SKIP_4) | instid1(VALU_DEP_1)
	s_cmp_lg_u32 s4, 0
	s_addc_u32 s6, s5, 0
	s_load_b64 s[4:5], s[22:23], 0x20
	v_cvt_f32_u32_e32 v0, s6
	s_sub_i32 s8, 0, s6
	v_rcp_iflag_f32_e32 v0, v0
	s_waitcnt_depctr 0xfff
	v_mul_f32_e32 v0, 0x4f7ffffe, v0
	s_delay_alu instid0(VALU_DEP_1) | instskip(NEXT) | instid1(VALU_DEP_1)
	v_cvt_u32_f32_e32 v0, v0
	v_readfirstlane_b32 s7, v0
	s_delay_alu instid0(VALU_DEP_1) | instskip(NEXT) | instid1(SALU_CYCLE_1)
	s_mul_i32 s8, s8, s7
	s_mul_hi_u32 s8, s7, s8
	s_delay_alu instid0(SALU_CYCLE_1)
	s_add_i32 s7, s7, s8
	s_waitcnt lgkmcnt(0)
	s_cmp_eq_u64 s[4:5], 0
	s_mul_hi_u32 s7, s21, s7
	s_cbranch_scc1 .LBB75_6
; %bb.4:
	s_load_b32 s15, s[4:5], 0x0
	s_load_b64 s[4:5], s[22:23], 0x30
	s_waitcnt lgkmcnt(0)
	s_cmp_eq_u64 s[4:5], 0
	s_cbranch_scc1 .LBB75_7
.LBB75_5:
	s_load_b32 s16, s[4:5], 0x0
	s_branch .LBB75_8
.LBB75_6:
	s_clause 0x1
	s_load_b32 s15, s[22:23], 0x18
	s_load_b64 s[4:5], s[22:23], 0x30
	s_waitcnt lgkmcnt(0)
	s_cmp_eq_u64 s[4:5], 0
	s_cbranch_scc0 .LBB75_5
.LBB75_7:
	s_load_b32 s16, s[22:23], 0x28
.LBB75_8:
	s_mul_i32 s4, s7, s6
	s_add_i32 s5, s7, 1
	s_sub_i32 s4, s21, s4
	v_and_b32_e32 v4, 15, v41
	s_sub_i32 s8, s4, s6
	s_cmp_ge_u32 s4, s6
	s_cselect_b32 s5, s5, s7
	s_cselect_b32 s4, s8, s4
	s_add_i32 s7, s5, 1
	s_cmp_ge_u32 s4, s6
	s_cselect_b32 s12, s7, s5
	s_delay_alu instid0(SALU_CYCLE_1) | instskip(NEXT) | instid1(SALU_CYCLE_1)
	s_mul_i32 s14, s12, s6
	s_sub_i32 s4, s21, s14
	s_delay_alu instid0(SALU_CYCLE_1) | instskip(NEXT) | instid1(VALU_DEP_1)
	v_lshl_or_b32 v1, s4, 4, v4
	v_cmp_gt_u32_e32 vcc_lo, s0, v1
	s_and_saveexec_b32 s0, vcc_lo
	s_cbranch_execz .LBB75_55
; %bb.9:
	v_lshrrev_b32_e32 v0, 2, v41
	s_clause 0x1
	s_load_b128 s[8:11], s[22:23], 0x48
	s_load_b128 s[4:7], s[22:23], 0x0
	s_waitcnt lgkmcnt(0)
	s_lshl_b32 s11, s12, 6
	s_load_b64 s[12:13], s[22:23], 0x10
	v_dual_mov_b32 v8, 0 :: v_dual_and_b32 v5, 0xfc, v0
	s_delay_alu instid0(VALU_DEP_1) | instskip(NEXT) | instid1(VALU_DEP_1)
	v_dual_mov_b32 v9, 0 :: v_dual_add_nc_u32 v0, s11, v5
	v_add_nc_u32_e32 v6, 4, v0
	v_mad_u64_u32 v[2:3], null, v1, s2, v[0:1]
	s_bitcmp1_b32 s10, 0
	s_delay_alu instid0(VALU_DEP_2)
	v_sub_nc_u32_e64 v7, v6, s1 clamp
	s_cselect_b32 vcc_lo, -1, 0
	s_cmp_lg_u64 s[6:7], 0
	s_mul_i32 s24, s24, s9
	s_cselect_b32 s10, -1, 0
	v_sub_nc_u32_e32 v12, v0, v7
	v_sub_nc_u32_e32 v10, v2, v7
	s_cmp_eq_u64 s[6:7], 0
	s_cbranch_scc1 .LBB75_11
; %bb.10:
	s_delay_alu instid0(VALU_DEP_2) | instskip(NEXT) | instid1(VALU_DEP_1)
	v_mad_u64_u32 v[2:3], null, v12, s2, v[1:2]
	v_cndmask_b32_e32 v2, v2, v10, vcc_lo
	s_delay_alu instid0(VALU_DEP_1)
	v_add_nc_u32_e32 v2, s24, v2
	global_load_i8 v2, v2, s[6:7]
	s_waitcnt vmcnt(0)
	v_cvt_f32_i32_e32 v8, v2
.LBB75_11:
	s_load_b32 s0, s[22:23], 0x50
	v_mad_u64_u32 v[2:3], null, v1, s3, v[0:1]
	v_mul_lo_u32 v11, v12, s3
	s_xor_b32 s17, vcc_lo, -1
	s_delay_alu instid0(VALU_DEP_2)
	v_sub_nc_u32_e32 v13, v2, v7
	s_waitcnt lgkmcnt(0)
	s_bitcmp1_b32 s0, 8
	s_cselect_b32 s0, -1, 0
	s_cmp_lg_u64 s[12:13], 0
	s_cselect_b32 s9, -1, 0
	s_cmp_eq_u64 s[12:13], 0
	s_cbranch_scc1 .LBB75_13
; %bb.12:
	v_add_nc_u32_e32 v2, v11, v1
	s_delay_alu instid0(VALU_DEP_1) | instskip(NEXT) | instid1(VALU_DEP_1)
	v_cndmask_b32_e64 v2, v13, v2, s0
	v_add_nc_u32_e32 v2, s24, v2
	global_load_i8 v2, v2, s[12:13]
	s_waitcnt vmcnt(0)
	v_cvt_f32_i32_e32 v9, v2
.LBB75_13:
	v_cndmask_b32_e64 v16, 0, 1, s17
	s_and_not1_b32 vcc_lo, exec_lo, s17
	s_cbranch_vccnz .LBB75_15
; %bb.14:
	v_mul_lo_u32 v2, s2, v12
	s_delay_alu instid0(VALU_DEP_1)
	v_add3_u32 v2, v2, s2, v1
	s_xor_b32 s0, s0, -1
	s_cbranch_execz .LBB75_16
	s_branch .LBB75_17
.LBB75_15:
                                        ; implicit-def: $vgpr2
	s_xor_b32 s0, s0, -1
.LBB75_16:
	v_add_nc_u32_e32 v2, 1, v10
.LBB75_17:
	v_cndmask_b32_e64 v17, 0, 1, s0
	s_and_not1_b32 vcc_lo, exec_lo, s0
	s_cbranch_vccnz .LBB75_19
; %bb.18:
	v_add_nc_u32_e32 v3, 1, v13
	s_cbranch_execz .LBB75_20
	s_branch .LBB75_21
.LBB75_19:
                                        ; implicit-def: $vgpr3
.LBB75_20:
	v_add3_u32 v3, v11, s3, v1
.LBB75_21:
	v_cndmask_b32_e64 v18, 0, 1, s10
	v_dual_mov_b32 v15, 0 :: v_dual_mov_b32 v14, 0
	s_and_not1_b32 vcc_lo, exec_lo, s10
	s_cbranch_vccnz .LBB75_23
; %bb.22:
	v_add_nc_u32_e32 v2, s24, v2
	global_load_i8 v2, v2, s[6:7]
	s_waitcnt vmcnt(0)
	v_cvt_f32_i32_e32 v14, v2
.LBB75_23:
	v_cndmask_b32_e64 v19, 0, 1, s9
	s_and_not1_b32 vcc_lo, exec_lo, s9
	s_cbranch_vccnz .LBB75_25
; %bb.24:
	v_add_nc_u32_e32 v2, s24, v3
	global_load_i8 v2, v2, s[12:13]
	s_waitcnt vmcnt(0)
	v_cvt_f32_i32_e32 v15, v2
.LBB75_25:
	v_cmp_ne_u32_e32 vcc_lo, 1, v16
	s_cbranch_vccnz .LBB75_27
; %bb.26:
	v_add_nc_u32_e32 v20, 2, v12
	s_delay_alu instid0(VALU_DEP_1)
	v_mad_u64_u32 v[2:3], null, v20, s2, v[1:2]
	s_cbranch_execz .LBB75_28
	s_branch .LBB75_29
.LBB75_27:
                                        ; implicit-def: $vgpr2
.LBB75_28:
	v_add_nc_u32_e32 v2, 2, v10
.LBB75_29:
	v_cmp_ne_u32_e32 vcc_lo, 1, v17
	s_cbranch_vccnz .LBB75_31
; %bb.30:
	v_add_nc_u32_e32 v3, 2, v13
	s_cbranch_execz .LBB75_32
	s_branch .LBB75_33
.LBB75_31:
                                        ; implicit-def: $vgpr3
.LBB75_32:
	s_lshl_b32 s0, s3, 1
	s_delay_alu instid0(SALU_CYCLE_1)
	v_add3_u32 v3, v11, s0, v1
.LBB75_33:
	v_cmp_ne_u32_e32 vcc_lo, 1, v18
	v_dual_mov_b32 v21, 0 :: v_dual_mov_b32 v20, 0
	s_cbranch_vccnz .LBB75_35
; %bb.34:
	v_add_nc_u32_e32 v2, s24, v2
	global_load_i8 v2, v2, s[6:7]
	s_waitcnt vmcnt(0)
	v_cvt_f32_i32_e32 v20, v2
.LBB75_35:
	v_cmp_ne_u32_e32 vcc_lo, 1, v19
	s_cbranch_vccnz .LBB75_37
; %bb.36:
	v_add_nc_u32_e32 v2, s24, v3
	global_load_i8 v2, v2, s[12:13]
	s_waitcnt vmcnt(0)
	v_cvt_f32_i32_e32 v21, v2
.LBB75_37:
	v_cmp_ne_u32_e32 vcc_lo, 1, v16
	s_cbranch_vccnz .LBB75_39
; %bb.38:
	v_add_nc_u32_e32 v12, 3, v12
	s_delay_alu instid0(VALU_DEP_1)
	v_mad_u64_u32 v[2:3], null, v12, s2, v[1:2]
	s_cbranch_execz .LBB75_40
	s_branch .LBB75_41
.LBB75_39:
                                        ; implicit-def: $vgpr2
.LBB75_40:
	v_add_nc_u32_e32 v2, 3, v10
.LBB75_41:
	v_cmp_ne_u32_e32 vcc_lo, 1, v17
	s_cbranch_vccnz .LBB75_43
; %bb.42:
	v_add_nc_u32_e32 v10, 3, v13
	s_cbranch_execz .LBB75_44
	s_branch .LBB75_45
.LBB75_43:
                                        ; implicit-def: $vgpr10
.LBB75_44:
	s_mul_i32 s0, s3, 3
	s_delay_alu instid0(SALU_CYCLE_1)
	v_add3_u32 v10, v11, s0, v1
.LBB75_45:
	v_cmp_ne_u32_e32 vcc_lo, 1, v18
	v_mov_b32_e32 v11, 0
	v_mov_b32_e32 v3, 0
	s_cbranch_vccnz .LBB75_47
; %bb.46:
	v_add_nc_u32_e32 v2, s24, v2
	global_load_i8 v2, v2, s[6:7]
	s_waitcnt vmcnt(0)
	v_cvt_f32_i32_e32 v3, v2
.LBB75_47:
	v_cmp_ne_u32_e32 vcc_lo, 1, v19
	s_cbranch_vccnz .LBB75_49
; %bb.48:
	v_add_nc_u32_e32 v2, s24, v10
	global_load_i8 v2, v2, s[12:13]
	s_waitcnt vmcnt(0)
	v_cvt_f32_i32_e32 v11, v2
.LBB75_49:
	v_dual_mul_f32 v2, s16, v9 :: v_dual_mul_f32 v9, s16, v15
	s_delay_alu instid0(VALU_DEP_2) | instskip(SKIP_1) | instid1(VALU_DEP_2)
	v_dual_mul_f32 v10, s16, v21 :: v_dual_mul_f32 v11, s16, v11
	s_mov_b32 s0, exec_lo
	v_dual_fmac_f32 v2, s15, v8 :: v_dual_fmac_f32 v9, s15, v14
	s_delay_alu instid0(VALU_DEP_2) | instskip(NEXT) | instid1(VALU_DEP_2)
	v_dual_fmac_f32 v10, s15, v20 :: v_dual_fmac_f32 v11, s15, v3
	v_cvt_i32_f32_e32 v3, v2
	s_delay_alu instid0(VALU_DEP_3) | instskip(NEXT) | instid1(VALU_DEP_3)
	v_cvt_i32_f32_e32 v9, v9
	v_cvt_i32_f32_e32 v2, v10
	s_delay_alu instid0(VALU_DEP_4)
	v_cvt_i32_f32_e32 v8, v11
	v_cmpx_ge_u32_e64 s1, v6
	s_xor_b32 s0, exec_lo, s0
; %bb.50:
	v_mul_lo_u32 v1, v1, s8
                                        ; implicit-def: $vgpr6
	s_delay_alu instid0(VALU_DEP_1) | instskip(NEXT) | instid1(VALU_DEP_1)
	v_add3_u32 v0, v0, s24, v1
	v_sub_nc_u32_e32 v0, v0, v7
                                        ; implicit-def: $vgpr7
	s_delay_alu instid0(VALU_DEP_1)
	v_add_nc_u32_e32 v1, 1, v0
	v_add_nc_u32_e32 v4, 2, v0
	v_add_nc_u32_e32 v5, 3, v0
	s_clause 0x3
	global_store_b8 v0, v3, s[4:5]
	global_store_b8 v1, v9, s[4:5]
	global_store_b8 v4, v2, s[4:5]
	global_store_b8 v5, v8, s[4:5]
                                        ; implicit-def: $vgpr4
                                        ; implicit-def: $vgpr5
                                        ; implicit-def: $vgpr0
                                        ; implicit-def: $vgpr3
                                        ; implicit-def: $vgpr9
                                        ; implicit-def: $vgpr2
                                        ; implicit-def: $vgpr8
; %bb.51:
	s_and_not1_saveexec_b32 s0, s0
	s_cbranch_execz .LBB75_55
; %bb.52:
	v_cmp_gt_u32_e32 vcc_lo, 4, v7
	s_and_b32 exec_lo, exec_lo, vcc_lo
	s_cbranch_execz .LBB75_55
; %bb.53:
	v_lshlrev_b16 v1, 8, v9
	v_and_b32_e32 v3, 0xff, v3
	v_lshl_or_b32 v4, s21, 4, v4
	v_lshlrev_b16 v7, 8, v8
	v_and_b32_e32 v2, 0xff, v2
	s_lshl_b32 s0, s14, 4
	v_or_b32_e32 v1, v3, v1
	v_subrev_nc_u32_e32 v3, s0, v4
	v_min_u32_e32 v4, s1, v6
	v_or_b32_e32 v2, v2, v7
	s_add_i32 s11, s11, s24
	v_and_b32_e32 v1, 0xffff, v1
	v_mul_lo_u32 v3, s8, v3
	v_sub_nc_u32_e32 v4, v0, v4
	v_lshlrev_b32_e32 v2, 16, v2
	s_mov_b32 s0, 0
	s_delay_alu instid0(VALU_DEP_1) | instskip(NEXT) | instid1(VALU_DEP_3)
	v_or_b32_e32 v0, v1, v2
	v_add_nc_u32_e32 v1, 3, v4
	v_add3_u32 v2, s11, v3, v5
.LBB75_54:                              ; =>This Inner Loop Header: Depth=1
	s_delay_alu instid0(VALU_DEP_2) | instskip(NEXT) | instid1(VALU_DEP_1)
	v_add_nc_u32_e32 v1, 1, v1
	v_lshlrev_b32_e32 v3, 3, v1
	v_cmp_lt_u32_e32 vcc_lo, 2, v1
	s_delay_alu instid0(VALU_DEP_2)
	v_lshrrev_b32_e32 v3, v3, v0
	s_or_b32 s0, vcc_lo, s0
	global_store_b8 v2, v3, s[4:5]
	v_add_nc_u32_e32 v2, 1, v2
	s_and_not1_b32 exec_lo, exec_lo, s0
	s_cbranch_execnz .LBB75_54
.LBB75_55:
	s_endpgm
	.section	.rodata,"a",@progbits
	.p2align	6, 0x0
	.amdhsa_kernel Transform_I8_S_011_16_16_VW_4
		.amdhsa_group_segment_fixed_size 0
		.amdhsa_private_segment_fixed_size 64
		.amdhsa_kernarg_size 344
		.amdhsa_user_sgpr_count 14
		.amdhsa_user_sgpr_dispatch_ptr 0
		.amdhsa_user_sgpr_queue_ptr 0
		.amdhsa_user_sgpr_kernarg_segment_ptr 1
		.amdhsa_user_sgpr_dispatch_id 0
		.amdhsa_user_sgpr_private_segment_size 0
		.amdhsa_wavefront_size32 1
		.amdhsa_uses_dynamic_stack 0
		.amdhsa_enable_private_segment 1
		.amdhsa_system_sgpr_workgroup_id_x 1
		.amdhsa_system_sgpr_workgroup_id_y 0
		.amdhsa_system_sgpr_workgroup_id_z 1
		.amdhsa_system_sgpr_workgroup_info 0
		.amdhsa_system_vgpr_workitem_id 0
		.amdhsa_next_free_vgpr 42
		.amdhsa_next_free_sgpr 34
		.amdhsa_reserve_vcc 1
		.amdhsa_float_round_mode_32 0
		.amdhsa_float_round_mode_16_64 0
		.amdhsa_float_denorm_mode_32 3
		.amdhsa_float_denorm_mode_16_64 3
		.amdhsa_dx10_clamp 1
		.amdhsa_ieee_mode 1
		.amdhsa_fp16_overflow 0
		.amdhsa_workgroup_processor_mode 1
		.amdhsa_memory_ordered 1
		.amdhsa_forward_progress 0
		.amdhsa_shared_vgpr_count 0
		.amdhsa_exception_fp_ieee_invalid_op 0
		.amdhsa_exception_fp_denorm_src 0
		.amdhsa_exception_fp_ieee_div_zero 0
		.amdhsa_exception_fp_ieee_overflow 0
		.amdhsa_exception_fp_ieee_underflow 0
		.amdhsa_exception_fp_ieee_inexact 0
		.amdhsa_exception_int_div_zero 0
	.end_amdhsa_kernel
	.text
.Lfunc_end75:
	.size	Transform_I8_S_011_16_16_VW_4, .Lfunc_end75-Transform_I8_S_011_16_16_VW_4
                                        ; -- End function
	.section	.AMDGPU.csdata,"",@progbits
; Kernel info:
; codeLenInByte = 1472
; NumSgprs: 36
; NumVgprs: 42
; ScratchSize: 64
; MemoryBound: 0
; FloatMode: 240
; IeeeMode: 1
; LDSByteSize: 0 bytes/workgroup (compile time only)
; SGPRBlocks: 4
; VGPRBlocks: 5
; NumSGPRsForWavesPerEU: 36
; NumVGPRsForWavesPerEU: 42
; Occupancy: 16
; WaveLimiterHint : 1
; COMPUTE_PGM_RSRC2:SCRATCH_EN: 1
; COMPUTE_PGM_RSRC2:USER_SGPR: 14
; COMPUTE_PGM_RSRC2:TRAP_HANDLER: 0
; COMPUTE_PGM_RSRC2:TGID_X_EN: 1
; COMPUTE_PGM_RSRC2:TGID_Y_EN: 0
; COMPUTE_PGM_RSRC2:TGID_Z_EN: 1
; COMPUTE_PGM_RSRC2:TIDIG_COMP_CNT: 0
	.text
	.protected	Transform_I8_S_010_16_16_VW_1 ; -- Begin function Transform_I8_S_010_16_16_VW_1
	.globl	Transform_I8_S_010_16_16_VW_1
	.p2align	8
	.type	Transform_I8_S_010_16_16_VW_1,@function
Transform_I8_S_010_16_16_VW_1:          ; @Transform_I8_S_010_16_16_VW_1
; %bb.0:
	s_mov_b64 s[22:23], s[0:1]
	s_load_b32 s0, s[0:1], 0x64
	v_mov_b32_e32 v41, v0
	s_mov_b32 s21, s15
	s_mov_b32 s24, s14
	;; [unrolled: 1-line block ×3, first 2 shown]
	s_waitcnt lgkmcnt(0)
	v_cmp_eq_u16_e64 s0, 0x100, s0
	s_delay_alu instid0(VALU_DEP_1)
	s_and_b32 vcc_lo, exec_lo, s0
	s_mov_b32 s0, -1
	s_cbranch_vccnz .LBB76_2
; %bb.1:
	s_add_u32 s8, s22, 0x58
	s_addc_u32 s9, s23, 0
	s_getpc_b64 s[0:1]
	s_add_u32 s0, s0, __PRETTY_FUNCTION__._ZN10amd_detail9transformIafLb0ELb1ELb0ELj16ELj16ELj1EEEvPT_PKS1_S4_T0_PKS5_S5_S7_jjjjjjbb@rel32@lo+4
	s_addc_u32 s1, s1, __PRETTY_FUNCTION__._ZN10amd_detail9transformIafLb0ELb1ELb0ELj16ELj16ELj1EEEvPT_PKS1_S4_T0_PKS5_S5_S7_jjjjjjbb@rel32@hi+12
	s_delay_alu instid0(SALU_CYCLE_1) | instskip(SKIP_3) | instid1(SALU_CYCLE_1)
	v_dual_mov_b32 v0, s0 :: v_dual_mov_b32 v1, s1
	s_getpc_b64 s[2:3]
	s_add_u32 s2, s2, __assert_fail@rel32@lo+4
	s_addc_u32 s3, s3, __assert_fail@rel32@hi+12
	s_swappc_b64 s[30:31], s[2:3]
	; divergent unreachable
	s_mov_b32 s0, 0
.LBB76_2:
	s_delay_alu instid0(SALU_CYCLE_1)
	s_and_not1_b32 vcc_lo, exec_lo, s0
	s_cbranch_vccnz .LBB76_14
; %bb.3:
	s_load_b256 s[0:7], s[22:23], 0x38
	s_waitcnt lgkmcnt(0)
	s_and_b32 s7, s0, 15
	s_lshr_b32 s8, s0, 4
	s_cmp_lg_u32 s7, 0
	s_cselect_b32 s7, -1, 0
	s_delay_alu instid0(SALU_CYCLE_1) | instskip(SKIP_4) | instid1(VALU_DEP_1)
	s_cmp_lg_u32 s7, 0
	s_addc_u32 s10, s8, 0
	s_load_b64 s[8:9], s[22:23], 0x20
	v_cvt_f32_u32_e32 v0, s10
	s_sub_i32 s11, 0, s10
	v_rcp_iflag_f32_e32 v0, v0
	s_waitcnt_depctr 0xfff
	v_mul_f32_e32 v0, 0x4f7ffffe, v0
	s_delay_alu instid0(VALU_DEP_1) | instskip(NEXT) | instid1(VALU_DEP_1)
	v_cvt_u32_f32_e32 v0, v0
	v_readfirstlane_b32 s7, v0
	s_delay_alu instid0(VALU_DEP_1) | instskip(NEXT) | instid1(SALU_CYCLE_1)
	s_mul_i32 s11, s11, s7
	s_mul_hi_u32 s11, s7, s11
	s_delay_alu instid0(SALU_CYCLE_1)
	s_add_i32 s7, s7, s11
	s_waitcnt lgkmcnt(0)
	s_cmp_eq_u64 s[8:9], 0
	s_mul_hi_u32 s11, s24, s7
	s_cbranch_scc1 .LBB76_6
; %bb.4:
	s_load_b32 s7, s[8:9], 0x0
	s_load_b64 s[8:9], s[22:23], 0x30
	s_waitcnt lgkmcnt(0)
	s_cmp_eq_u64 s[8:9], 0
	s_cbranch_scc1 .LBB76_7
.LBB76_5:
	s_load_b32 s12, s[8:9], 0x0
	s_branch .LBB76_8
.LBB76_6:
	s_clause 0x1
	s_load_b32 s7, s[22:23], 0x18
	s_load_b64 s[8:9], s[22:23], 0x30
	s_waitcnt lgkmcnt(0)
	s_cmp_eq_u64 s[8:9], 0
	s_cbranch_scc0 .LBB76_5
.LBB76_7:
	s_load_b32 s12, s[22:23], 0x28
.LBB76_8:
	s_mul_i32 s8, s11, s10
	s_add_i32 s9, s11, 1
	s_sub_i32 s8, s24, s8
	v_and_b32_e32 v0, 15, v41
	s_sub_i32 s13, s8, s10
	s_cmp_ge_u32 s8, s10
	v_lshrrev_b32_e32 v1, 4, v41
	s_cselect_b32 s9, s9, s11
	s_cselect_b32 s8, s13, s8
	s_add_i32 s11, s9, 1
	s_cmp_ge_u32 s8, s10
	s_cselect_b32 s8, s11, s9
	s_delay_alu instid0(SALU_CYCLE_1) | instskip(SKIP_2) | instid1(SALU_CYCLE_1)
	s_mul_i32 s9, s8, s10
	v_lshl_add_u32 v1, s8, 4, v1
	s_sub_i32 s9, s24, s9
	v_lshl_or_b32 v0, s9, 4, v0
	s_delay_alu instid0(VALU_DEP_1) | instskip(NEXT) | instid1(VALU_DEP_3)
	v_cmp_gt_u32_e32 vcc_lo, s0, v0
	v_cmp_gt_u32_e64 s0, s1, v1
	s_delay_alu instid0(VALU_DEP_1) | instskip(NEXT) | instid1(SALU_CYCLE_1)
	s_and_b32 s0, vcc_lo, s0
	s_and_saveexec_b32 s1, s0
	s_cbranch_execz .LBB76_14
; %bb.9:
	s_clause 0x1
	s_load_b128 s[8:11], s[22:23], 0x0
	s_load_b64 s[0:1], s[22:23], 0x10
	v_dual_mov_b32 v3, 0 :: v_dual_mov_b32 v2, 0
	s_mul_i32 s21, s21, s5
	s_waitcnt lgkmcnt(0)
	s_cmp_eq_u64 s[10:11], 0
	s_cbranch_scc1 .LBB76_11
; %bb.10:
	s_bitcmp1_b32 s6, 0
	s_cselect_b32 vcc_lo, -1, 0
	v_cndmask_b32_e32 v2, v1, v0, vcc_lo
	v_cndmask_b32_e32 v4, v0, v1, vcc_lo
	s_delay_alu instid0(VALU_DEP_2) | instskip(NEXT) | instid1(VALU_DEP_1)
	v_mul_lo_u32 v2, v2, s2
	v_add3_u32 v2, v4, s21, v2
	global_load_i8 v2, v2, s[10:11]
	s_waitcnt vmcnt(0)
	v_cvt_f32_i32_e32 v2, v2
.LBB76_11:
	s_cmp_eq_u64 s[0:1], 0
	s_cbranch_scc1 .LBB76_13
; %bb.12:
	s_load_b32 s2, s[22:23], 0x50
	s_waitcnt lgkmcnt(0)
	s_bitcmp1_b32 s2, 8
	s_cselect_b32 vcc_lo, -1, 0
	v_dual_cndmask_b32 v3, v0, v1 :: v_dual_cndmask_b32 v4, v1, v0
	s_delay_alu instid0(VALU_DEP_1) | instskip(NEXT) | instid1(VALU_DEP_1)
	v_mul_lo_u32 v3, v3, s3
	v_add3_u32 v3, v4, s21, v3
	global_load_i8 v3, v3, s[0:1]
	s_waitcnt vmcnt(0)
	v_cvt_f32_i32_e32 v3, v3
.LBB76_13:
	s_delay_alu instid0(VALU_DEP_1) | instskip(SKIP_1) | instid1(VALU_DEP_2)
	v_mul_f32_e32 v3, s12, v3
	v_mul_lo_u32 v1, v1, s4
	v_fmac_f32_e32 v3, s7, v2
	s_delay_alu instid0(VALU_DEP_2) | instskip(NEXT) | instid1(VALU_DEP_2)
	v_add3_u32 v0, v0, s21, v1
	v_cvt_i32_f32_e32 v2, v3
	global_store_b8 v0, v2, s[8:9]
.LBB76_14:
	s_endpgm
	.section	.rodata,"a",@progbits
	.p2align	6, 0x0
	.amdhsa_kernel Transform_I8_S_010_16_16_VW_1
		.amdhsa_group_segment_fixed_size 0
		.amdhsa_private_segment_fixed_size 64
		.amdhsa_kernarg_size 344
		.amdhsa_user_sgpr_count 14
		.amdhsa_user_sgpr_dispatch_ptr 0
		.amdhsa_user_sgpr_queue_ptr 0
		.amdhsa_user_sgpr_kernarg_segment_ptr 1
		.amdhsa_user_sgpr_dispatch_id 0
		.amdhsa_user_sgpr_private_segment_size 0
		.amdhsa_wavefront_size32 1
		.amdhsa_uses_dynamic_stack 0
		.amdhsa_enable_private_segment 1
		.amdhsa_system_sgpr_workgroup_id_x 1
		.amdhsa_system_sgpr_workgroup_id_y 0
		.amdhsa_system_sgpr_workgroup_id_z 1
		.amdhsa_system_sgpr_workgroup_info 0
		.amdhsa_system_vgpr_workitem_id 0
		.amdhsa_next_free_vgpr 42
		.amdhsa_next_free_sgpr 34
		.amdhsa_reserve_vcc 1
		.amdhsa_float_round_mode_32 0
		.amdhsa_float_round_mode_16_64 0
		.amdhsa_float_denorm_mode_32 3
		.amdhsa_float_denorm_mode_16_64 3
		.amdhsa_dx10_clamp 1
		.amdhsa_ieee_mode 1
		.amdhsa_fp16_overflow 0
		.amdhsa_workgroup_processor_mode 1
		.amdhsa_memory_ordered 1
		.amdhsa_forward_progress 0
		.amdhsa_shared_vgpr_count 0
		.amdhsa_exception_fp_ieee_invalid_op 0
		.amdhsa_exception_fp_denorm_src 0
		.amdhsa_exception_fp_ieee_div_zero 0
		.amdhsa_exception_fp_ieee_overflow 0
		.amdhsa_exception_fp_ieee_underflow 0
		.amdhsa_exception_fp_ieee_inexact 0
		.amdhsa_exception_int_div_zero 0
	.end_amdhsa_kernel
	.text
.Lfunc_end76:
	.size	Transform_I8_S_010_16_16_VW_1, .Lfunc_end76-Transform_I8_S_010_16_16_VW_1
                                        ; -- End function
	.section	.AMDGPU.csdata,"",@progbits
; Kernel info:
; codeLenInByte = 668
; NumSgprs: 36
; NumVgprs: 42
; ScratchSize: 64
; MemoryBound: 0
; FloatMode: 240
; IeeeMode: 1
; LDSByteSize: 0 bytes/workgroup (compile time only)
; SGPRBlocks: 4
; VGPRBlocks: 5
; NumSGPRsForWavesPerEU: 36
; NumVGPRsForWavesPerEU: 42
; Occupancy: 16
; WaveLimiterHint : 1
; COMPUTE_PGM_RSRC2:SCRATCH_EN: 1
; COMPUTE_PGM_RSRC2:USER_SGPR: 14
; COMPUTE_PGM_RSRC2:TRAP_HANDLER: 0
; COMPUTE_PGM_RSRC2:TGID_X_EN: 1
; COMPUTE_PGM_RSRC2:TGID_Y_EN: 0
; COMPUTE_PGM_RSRC2:TGID_Z_EN: 1
; COMPUTE_PGM_RSRC2:TIDIG_COMP_CNT: 0
	.text
	.protected	Transform_I8_S_010_16_16_VW_4 ; -- Begin function Transform_I8_S_010_16_16_VW_4
	.globl	Transform_I8_S_010_16_16_VW_4
	.p2align	8
	.type	Transform_I8_S_010_16_16_VW_4,@function
Transform_I8_S_010_16_16_VW_4:          ; @Transform_I8_S_010_16_16_VW_4
; %bb.0:
	s_mov_b64 s[22:23], s[0:1]
	s_load_b32 s0, s[0:1], 0x64
	v_mov_b32_e32 v41, v0
	s_mov_b32 s24, s15
	s_mov_b32 s21, s14
	;; [unrolled: 1-line block ×3, first 2 shown]
	s_waitcnt lgkmcnt(0)
	v_cmp_eq_u16_e64 s0, 0x100, s0
	s_delay_alu instid0(VALU_DEP_1)
	s_and_b32 vcc_lo, exec_lo, s0
	s_mov_b32 s0, -1
	s_cbranch_vccnz .LBB77_2
; %bb.1:
	s_add_u32 s8, s22, 0x58
	s_addc_u32 s9, s23, 0
	s_getpc_b64 s[0:1]
	s_add_u32 s0, s0, __PRETTY_FUNCTION__._ZN10amd_detail9transformIafLb0ELb1ELb0ELj16ELj16ELj4EEEvPT_PKS1_S4_T0_PKS5_S5_S7_jjjjjjbb@rel32@lo+4
	s_addc_u32 s1, s1, __PRETTY_FUNCTION__._ZN10amd_detail9transformIafLb0ELb1ELb0ELj16ELj16ELj4EEEvPT_PKS1_S4_T0_PKS5_S5_S7_jjjjjjbb@rel32@hi+12
	s_delay_alu instid0(SALU_CYCLE_1) | instskip(SKIP_3) | instid1(SALU_CYCLE_1)
	v_dual_mov_b32 v0, s0 :: v_dual_mov_b32 v1, s1
	s_getpc_b64 s[2:3]
	s_add_u32 s2, s2, __assert_fail@rel32@lo+4
	s_addc_u32 s3, s3, __assert_fail@rel32@hi+12
	s_swappc_b64 s[30:31], s[2:3]
	; divergent unreachable
	s_mov_b32 s0, 0
.LBB77_2:
	s_delay_alu instid0(SALU_CYCLE_1)
	s_and_not1_b32 vcc_lo, exec_lo, s0
	s_cbranch_vccnz .LBB77_55
; %bb.3:
	s_load_b256 s[4:11], s[22:23], 0x38
	s_waitcnt lgkmcnt(0)
	s_and_b32 s0, s4, 63
	s_lshr_b32 s1, s4, 6
	s_cmp_lg_u32 s0, 0
	s_cselect_b32 s0, -1, 0
	s_delay_alu instid0(SALU_CYCLE_1) | instskip(SKIP_4) | instid1(VALU_DEP_1)
	s_cmp_lg_u32 s0, 0
	s_addc_u32 s2, s1, 0
	s_load_b64 s[0:1], s[22:23], 0x20
	v_cvt_f32_u32_e32 v0, s2
	s_sub_i32 s11, 0, s2
	v_rcp_iflag_f32_e32 v0, v0
	s_waitcnt_depctr 0xfff
	v_mul_f32_e32 v0, 0x4f7ffffe, v0
	s_delay_alu instid0(VALU_DEP_1) | instskip(NEXT) | instid1(VALU_DEP_1)
	v_cvt_u32_f32_e32 v0, v0
	v_readfirstlane_b32 s3, v0
	s_delay_alu instid0(VALU_DEP_1) | instskip(NEXT) | instid1(SALU_CYCLE_1)
	s_mul_i32 s11, s11, s3
	s_mul_hi_u32 s11, s3, s11
	s_delay_alu instid0(SALU_CYCLE_1)
	s_add_i32 s3, s3, s11
	s_waitcnt lgkmcnt(0)
	s_cmp_eq_u64 s[0:1], 0
	s_mul_hi_u32 s3, s21, s3
	s_cbranch_scc1 .LBB77_6
; %bb.4:
	s_load_b32 s11, s[0:1], 0x0
	s_load_b64 s[0:1], s[22:23], 0x30
	s_waitcnt lgkmcnt(0)
	s_cmp_eq_u64 s[0:1], 0
	s_cbranch_scc1 .LBB77_7
.LBB77_5:
	s_load_b32 s16, s[0:1], 0x0
	s_branch .LBB77_8
.LBB77_6:
	s_clause 0x1
	s_load_b32 s11, s[22:23], 0x18
	s_load_b64 s[0:1], s[22:23], 0x30
	s_waitcnt lgkmcnt(0)
	s_cmp_eq_u64 s[0:1], 0
	s_cbranch_scc0 .LBB77_5
.LBB77_7:
	s_load_b32 s16, s[22:23], 0x28
.LBB77_8:
	s_mul_i32 s0, s3, s2
	s_add_i32 s1, s3, 1
	s_sub_i32 s0, s21, s0
	v_lshrrev_b32_e32 v0, 4, v41
	s_sub_i32 s12, s0, s2
	s_cmp_ge_u32 s0, s2
	s_cselect_b32 s1, s1, s3
	s_cselect_b32 s0, s12, s0
	s_add_i32 s3, s1, 1
	s_cmp_ge_u32 s0, s2
	s_mov_b32 s0, exec_lo
	s_cselect_b32 s1, s3, s1
	s_delay_alu instid0(SALU_CYCLE_1) | instskip(NEXT) | instid1(VALU_DEP_1)
	v_lshl_add_u32 v0, s1, 4, v0
	v_cmpx_gt_u32_e64 s5, v0
	s_cbranch_execz .LBB77_55
; %bb.9:
	v_dual_mov_b32 v12, 0 :: v_dual_lshlrev_b32 v1, 2, v41
	s_mul_i32 s1, s1, s2
	s_clause 0x1
	s_load_b128 s[12:15], s[22:23], 0x0
	s_load_b64 s[2:3], s[22:23], 0x10
	v_dual_mov_b32 v13, 0 :: v_dual_and_b32 v8, 60, v1
	s_sub_i32 s0, s21, s1
	s_bitcmp1_b32 s10, 0
	s_mul_i32 s24, s24, s9
	s_delay_alu instid0(VALU_DEP_1) | instskip(SKIP_1) | instid1(VALU_DEP_1)
	v_lshl_or_b32 v10, s0, 6, v8
	s_cselect_b32 vcc_lo, -1, 0
	v_add_nc_u32_e32 v11, 4, v10
	s_delay_alu instid0(VALU_DEP_1) | instskip(SKIP_3) | instid1(VALU_DEP_1)
	v_sub_nc_u32_e64 v9, v11, s4 clamp
	s_waitcnt lgkmcnt(0)
	s_cmp_lg_u64 s[14:15], 0
	s_cselect_b32 s5, -1, 0
	v_sub_nc_u32_e32 v3, v10, v9
	s_cmp_eq_u64 s[14:15], 0
	s_delay_alu instid0(VALU_DEP_1)
	v_mad_u64_u32 v[4:5], null, v0, s6, v[3:4]
	s_cbranch_scc1 .LBB77_11
; %bb.10:
	v_mad_u64_u32 v[1:2], null, v3, s6, v[0:1]
	s_delay_alu instid0(VALU_DEP_1) | instskip(NEXT) | instid1(VALU_DEP_1)
	v_cndmask_b32_e32 v1, v4, v1, vcc_lo
	v_add_nc_u32_e32 v1, s24, v1
	global_load_i8 v1, v1, s[14:15]
	s_waitcnt vmcnt(0)
	v_cvt_f32_i32_e32 v12, v1
.LBB77_11:
	s_load_b32 s0, s[22:23], 0x50
	s_delay_alu instid0(VALU_DEP_1)
	v_mad_u64_u32 v[1:2], null, v0, s7, v[3:4]
	s_xor_b32 s10, vcc_lo, -1
	s_waitcnt lgkmcnt(0)
	s_bitcmp1_b32 s0, 8
	s_cselect_b32 s0, -1, 0
	s_cmp_lg_u64 s[2:3], 0
	s_cselect_b32 s9, -1, 0
	s_cmp_eq_u64 s[2:3], 0
	s_cbranch_scc1 .LBB77_13
; %bb.12:
	v_mad_u64_u32 v[5:6], null, v3, s7, v[0:1]
	s_delay_alu instid0(VALU_DEP_1) | instskip(NEXT) | instid1(VALU_DEP_1)
	v_cndmask_b32_e64 v2, v5, v1, s0
	v_add_nc_u32_e32 v2, s24, v2
	global_load_i8 v2, v2, s[2:3]
	s_waitcnt vmcnt(0)
	v_cvt_f32_i32_e32 v13, v2
.LBB77_13:
	v_cndmask_b32_e64 v2, 0, 1, s10
	s_and_not1_b32 vcc_lo, exec_lo, s10
	s_cbranch_vccnz .LBB77_15
; %bb.14:
	v_add_nc_u32_e32 v5, 1, v4
	s_xor_b32 s0, s0, -1
	s_cbranch_execz .LBB77_16
	s_branch .LBB77_17
.LBB77_15:
                                        ; implicit-def: $vgpr5
	s_xor_b32 s0, s0, -1
.LBB77_16:
	v_mul_lo_u32 v5, s6, v3
	s_delay_alu instid0(VALU_DEP_1)
	v_add3_u32 v5, v5, s6, v0
.LBB77_17:
	v_cndmask_b32_e64 v16, 0, 1, s0
	s_and_not1_b32 vcc_lo, exec_lo, s0
	s_cbranch_vccnz .LBB77_19
; %bb.18:
	v_mul_lo_u32 v6, s7, v3
	s_delay_alu instid0(VALU_DEP_1)
	v_add3_u32 v6, v6, s7, v0
	s_cbranch_execz .LBB77_20
	s_branch .LBB77_21
.LBB77_19:
                                        ; implicit-def: $vgpr6
.LBB77_20:
	v_add_nc_u32_e32 v6, 1, v1
.LBB77_21:
	v_cndmask_b32_e64 v17, 0, 1, s5
	v_dual_mov_b32 v15, 0 :: v_dual_mov_b32 v14, 0
	s_and_not1_b32 vcc_lo, exec_lo, s5
	s_cbranch_vccnz .LBB77_23
; %bb.22:
	v_add_nc_u32_e32 v5, s24, v5
	global_load_i8 v5, v5, s[14:15]
	s_waitcnt vmcnt(0)
	v_cvt_f32_i32_e32 v14, v5
.LBB77_23:
	v_cndmask_b32_e64 v18, 0, 1, s9
	s_and_not1_b32 vcc_lo, exec_lo, s9
	s_cbranch_vccnz .LBB77_25
; %bb.24:
	v_add_nc_u32_e32 v5, s24, v6
	global_load_i8 v5, v5, s[2:3]
	s_waitcnt vmcnt(0)
	v_cvt_f32_i32_e32 v15, v5
.LBB77_25:
	v_cmp_ne_u32_e32 vcc_lo, 1, v2
	s_cbranch_vccnz .LBB77_27
; %bb.26:
	v_add_nc_u32_e32 v5, 2, v4
	v_add_nc_u32_e32 v19, 2, v3
	s_cbranch_execz .LBB77_28
	s_branch .LBB77_29
.LBB77_27:
                                        ; implicit-def: $vgpr5
	v_add_nc_u32_e32 v19, 2, v3
.LBB77_28:
	s_delay_alu instid0(VALU_DEP_1)
	v_mad_u64_u32 v[5:6], null, v19, s6, v[0:1]
.LBB77_29:
	v_cmp_ne_u32_e32 vcc_lo, 1, v16
	s_cbranch_vccnz .LBB77_31
; %bb.30:
	v_mad_u64_u32 v[6:7], null, v19, s7, v[0:1]
	s_cbranch_execz .LBB77_32
	s_branch .LBB77_33
.LBB77_31:
                                        ; implicit-def: $vgpr6
.LBB77_32:
	v_add_nc_u32_e32 v6, 2, v1
.LBB77_33:
	v_cmp_ne_u32_e32 vcc_lo, 1, v17
	v_mov_b32_e32 v19, 0
	v_mov_b32_e32 v7, 0
	s_cbranch_vccnz .LBB77_35
; %bb.34:
	v_add_nc_u32_e32 v5, s24, v5
	global_load_i8 v5, v5, s[14:15]
	s_waitcnt vmcnt(0)
	v_cvt_f32_i32_e32 v7, v5
.LBB77_35:
	v_cmp_ne_u32_e32 vcc_lo, 1, v18
	s_cbranch_vccnz .LBB77_37
; %bb.36:
	v_add_nc_u32_e32 v5, s24, v6
	global_load_i8 v5, v5, s[2:3]
	s_waitcnt vmcnt(0)
	v_cvt_f32_i32_e32 v19, v5
.LBB77_37:
	v_cmp_ne_u32_e32 vcc_lo, 1, v2
	s_cbranch_vccnz .LBB77_39
; %bb.38:
	v_add_nc_u32_e32 v2, 3, v4
	v_add_nc_u32_e32 v5, 3, v3
	s_cbranch_execz .LBB77_40
	s_branch .LBB77_41
.LBB77_39:
                                        ; implicit-def: $vgpr2
	v_add_nc_u32_e32 v5, 3, v3
.LBB77_40:
	s_delay_alu instid0(VALU_DEP_1)
	v_mad_u64_u32 v[2:3], null, v5, s6, v[0:1]
.LBB77_41:
	v_cmp_ne_u32_e32 vcc_lo, 1, v16
	s_cbranch_vccnz .LBB77_43
; %bb.42:
	v_mad_u64_u32 v[3:4], null, v5, s7, v[0:1]
	s_cbranch_execz .LBB77_44
	s_branch .LBB77_45
.LBB77_43:
                                        ; implicit-def: $vgpr3
.LBB77_44:
	v_add_nc_u32_e32 v3, 3, v1
.LBB77_45:
	v_cmp_ne_u32_e32 vcc_lo, 1, v17
	v_dual_mov_b32 v4, 0 :: v_dual_mov_b32 v1, 0
	s_cbranch_vccnz .LBB77_47
; %bb.46:
	v_add_nc_u32_e32 v1, s24, v2
	global_load_i8 v1, v1, s[14:15]
	s_waitcnt vmcnt(0)
	v_cvt_f32_i32_e32 v1, v1
.LBB77_47:
	v_cmp_ne_u32_e32 vcc_lo, 1, v18
	s_cbranch_vccnz .LBB77_49
; %bb.48:
	v_add_nc_u32_e32 v2, s24, v3
	global_load_i8 v2, v2, s[2:3]
	s_waitcnt vmcnt(0)
	v_cvt_f32_i32_e32 v4, v2
.LBB77_49:
	v_dual_mul_f32 v2, s16, v13 :: v_dual_mul_f32 v3, s16, v15
	s_delay_alu instid0(VALU_DEP_2) | instskip(SKIP_1) | instid1(VALU_DEP_3)
	v_dual_mul_f32 v5, s16, v19 :: v_dual_mul_f32 v6, s16, v4
	v_mul_lo_u32 v0, v0, s8
	v_dual_fmac_f32 v2, s11, v12 :: v_dual_fmac_f32 v3, s11, v14
	s_delay_alu instid0(VALU_DEP_3) | instskip(SKIP_1) | instid1(VALU_DEP_2)
	v_dual_fmac_f32 v5, s11, v7 :: v_dual_fmac_f32 v6, s11, v1
	s_mov_b32 s0, exec_lo
	v_cvt_i32_f32_e32 v2, v2
	s_delay_alu instid0(VALU_DEP_3) | instskip(NEXT) | instid1(VALU_DEP_3)
	v_cvt_i32_f32_e32 v1, v3
	v_cvt_i32_f32_e32 v4, v5
	;; [unrolled: 1-line block ×3, first 2 shown]
	v_cmpx_ge_u32_e64 s4, v11
	s_xor_b32 s0, exec_lo, s0
; %bb.50:
	v_add_nc_u32_e32 v5, s24, v10
                                        ; implicit-def: $vgpr8
	s_delay_alu instid0(VALU_DEP_1) | instskip(NEXT) | instid1(VALU_DEP_1)
	v_sub_nc_u32_e32 v5, v5, v9
                                        ; implicit-def: $vgpr9
	v_add_nc_u32_e32 v0, v5, v0
	s_delay_alu instid0(VALU_DEP_1)
	v_add_nc_u32_e32 v5, 1, v0
	v_add_nc_u32_e32 v6, 2, v0
	;; [unrolled: 1-line block ×3, first 2 shown]
	s_clause 0x3
	global_store_b8 v0, v2, s[12:13]
	global_store_b8 v5, v1, s[12:13]
	;; [unrolled: 1-line block ×4, first 2 shown]
                                        ; implicit-def: $vgpr1
                                        ; implicit-def: $vgpr2
                                        ; implicit-def: $vgpr3
                                        ; implicit-def: $vgpr4
                                        ; implicit-def: $vgpr0
; %bb.51:
	s_and_not1_saveexec_b32 s0, s0
	s_cbranch_execz .LBB77_55
; %bb.52:
	v_cmp_gt_u32_e32 vcc_lo, 4, v9
	s_and_b32 exec_lo, exec_lo, vcc_lo
	s_cbranch_execz .LBB77_55
; %bb.53:
	v_lshl_or_b32 v5, s21, 6, v8
	s_lshl_b32 s0, s1, 6
	v_lshlrev_b16 v1, 8, v1
	v_and_b32_e32 v2, 0xff, v2
	v_lshlrev_b16 v3, 8, v3
	v_subrev_nc_u32_e32 v6, s0, v5
	v_and_b32_e32 v4, 0xff, v4
	s_delay_alu instid0(VALU_DEP_4) | instskip(NEXT) | instid1(VALU_DEP_3)
	v_or_b32_e32 v1, v2, v1
	v_add_nc_u32_e32 v7, 4, v6
	s_delay_alu instid0(VALU_DEP_3) | instskip(SKIP_1) | instid1(VALU_DEP_4)
	v_or_b32_e32 v2, v4, v3
	v_add3_u32 v4, s24, v0, v5
	v_and_b32_e32 v1, 0xffff, v1
	s_delay_alu instid0(VALU_DEP_4) | instskip(NEXT) | instid1(VALU_DEP_4)
	v_min_u32_e32 v3, s4, v7
	v_lshlrev_b32_e32 v2, 16, v2
	s_delay_alu instid0(VALU_DEP_2) | instskip(NEXT) | instid1(VALU_DEP_2)
	v_sub_nc_u32_e32 v3, v6, v3
	v_or_b32_e32 v0, v1, v2
	v_subrev_nc_u32_e32 v2, s0, v4
	s_mov_b32 s0, 0
	s_delay_alu instid0(VALU_DEP_3)
	v_add_nc_u32_e32 v1, 3, v3
.LBB77_54:                              ; =>This Inner Loop Header: Depth=1
	s_delay_alu instid0(VALU_DEP_1) | instskip(NEXT) | instid1(VALU_DEP_1)
	v_add_nc_u32_e32 v1, 1, v1
	v_lshlrev_b32_e32 v3, 3, v1
	v_cmp_lt_u32_e32 vcc_lo, 2, v1
	s_delay_alu instid0(VALU_DEP_2)
	v_lshrrev_b32_e32 v3, v3, v0
	s_or_b32 s0, vcc_lo, s0
	global_store_b8 v2, v3, s[12:13]
	v_add_nc_u32_e32 v2, 1, v2
	s_and_not1_b32 exec_lo, exec_lo, s0
	s_cbranch_execnz .LBB77_54
.LBB77_55:
	s_endpgm
	.section	.rodata,"a",@progbits
	.p2align	6, 0x0
	.amdhsa_kernel Transform_I8_S_010_16_16_VW_4
		.amdhsa_group_segment_fixed_size 0
		.amdhsa_private_segment_fixed_size 64
		.amdhsa_kernarg_size 344
		.amdhsa_user_sgpr_count 14
		.amdhsa_user_sgpr_dispatch_ptr 0
		.amdhsa_user_sgpr_queue_ptr 0
		.amdhsa_user_sgpr_kernarg_segment_ptr 1
		.amdhsa_user_sgpr_dispatch_id 0
		.amdhsa_user_sgpr_private_segment_size 0
		.amdhsa_wavefront_size32 1
		.amdhsa_uses_dynamic_stack 0
		.amdhsa_enable_private_segment 1
		.amdhsa_system_sgpr_workgroup_id_x 1
		.amdhsa_system_sgpr_workgroup_id_y 0
		.amdhsa_system_sgpr_workgroup_id_z 1
		.amdhsa_system_sgpr_workgroup_info 0
		.amdhsa_system_vgpr_workitem_id 0
		.amdhsa_next_free_vgpr 42
		.amdhsa_next_free_sgpr 34
		.amdhsa_reserve_vcc 1
		.amdhsa_float_round_mode_32 0
		.amdhsa_float_round_mode_16_64 0
		.amdhsa_float_denorm_mode_32 3
		.amdhsa_float_denorm_mode_16_64 3
		.amdhsa_dx10_clamp 1
		.amdhsa_ieee_mode 1
		.amdhsa_fp16_overflow 0
		.amdhsa_workgroup_processor_mode 1
		.amdhsa_memory_ordered 1
		.amdhsa_forward_progress 0
		.amdhsa_shared_vgpr_count 0
		.amdhsa_exception_fp_ieee_invalid_op 0
		.amdhsa_exception_fp_denorm_src 0
		.amdhsa_exception_fp_ieee_div_zero 0
		.amdhsa_exception_fp_ieee_overflow 0
		.amdhsa_exception_fp_ieee_underflow 0
		.amdhsa_exception_fp_ieee_inexact 0
		.amdhsa_exception_int_div_zero 0
	.end_amdhsa_kernel
	.text
.Lfunc_end77:
	.size	Transform_I8_S_010_16_16_VW_4, .Lfunc_end77-Transform_I8_S_010_16_16_VW_4
                                        ; -- End function
	.section	.AMDGPU.csdata,"",@progbits
; Kernel info:
; codeLenInByte = 1460
; NumSgprs: 36
; NumVgprs: 42
; ScratchSize: 64
; MemoryBound: 0
; FloatMode: 240
; IeeeMode: 1
; LDSByteSize: 0 bytes/workgroup (compile time only)
; SGPRBlocks: 4
; VGPRBlocks: 5
; NumSGPRsForWavesPerEU: 36
; NumVGPRsForWavesPerEU: 42
; Occupancy: 16
; WaveLimiterHint : 1
; COMPUTE_PGM_RSRC2:SCRATCH_EN: 1
; COMPUTE_PGM_RSRC2:USER_SGPR: 14
; COMPUTE_PGM_RSRC2:TRAP_HANDLER: 0
; COMPUTE_PGM_RSRC2:TGID_X_EN: 1
; COMPUTE_PGM_RSRC2:TGID_Y_EN: 0
; COMPUTE_PGM_RSRC2:TGID_Z_EN: 1
; COMPUTE_PGM_RSRC2:TIDIG_COMP_CNT: 0
	.text
	.protected	Transform_I8_S_001_16_16_VW_1 ; -- Begin function Transform_I8_S_001_16_16_VW_1
	.globl	Transform_I8_S_001_16_16_VW_1
	.p2align	8
	.type	Transform_I8_S_001_16_16_VW_1,@function
Transform_I8_S_001_16_16_VW_1:          ; @Transform_I8_S_001_16_16_VW_1
; %bb.0:
	s_mov_b64 s[22:23], s[0:1]
	s_load_b32 s0, s[0:1], 0x64
	v_mov_b32_e32 v41, v0
	s_mov_b32 s21, s15
	s_mov_b32 s24, s14
	;; [unrolled: 1-line block ×3, first 2 shown]
	s_waitcnt lgkmcnt(0)
	v_cmp_eq_u16_e64 s0, 0x100, s0
	s_delay_alu instid0(VALU_DEP_1)
	s_and_b32 vcc_lo, exec_lo, s0
	s_mov_b32 s0, -1
	s_cbranch_vccnz .LBB78_2
; %bb.1:
	s_add_u32 s8, s22, 0x58
	s_addc_u32 s9, s23, 0
	s_getpc_b64 s[0:1]
	s_add_u32 s0, s0, __PRETTY_FUNCTION__._ZN10amd_detail9transformIafLb0ELb0ELb1ELj16ELj16ELj1EEEvPT_PKS1_S4_T0_PKS5_S5_S7_jjjjjjbb@rel32@lo+4
	s_addc_u32 s1, s1, __PRETTY_FUNCTION__._ZN10amd_detail9transformIafLb0ELb0ELb1ELj16ELj16ELj1EEEvPT_PKS1_S4_T0_PKS5_S5_S7_jjjjjjbb@rel32@hi+12
	s_delay_alu instid0(SALU_CYCLE_1) | instskip(SKIP_3) | instid1(SALU_CYCLE_1)
	v_dual_mov_b32 v0, s0 :: v_dual_mov_b32 v1, s1
	s_getpc_b64 s[2:3]
	s_add_u32 s2, s2, __assert_fail@rel32@lo+4
	s_addc_u32 s3, s3, __assert_fail@rel32@hi+12
	s_swappc_b64 s[30:31], s[2:3]
	; divergent unreachable
	s_mov_b32 s0, 0
.LBB78_2:
	s_delay_alu instid0(SALU_CYCLE_1)
	s_and_not1_b32 vcc_lo, exec_lo, s0
	s_cbranch_vccnz .LBB78_14
; %bb.3:
	s_load_b256 s[0:7], s[22:23], 0x38
	s_waitcnt lgkmcnt(0)
	s_and_b32 s7, s0, 15
	s_lshr_b32 s8, s0, 4
	s_cmp_lg_u32 s7, 0
	s_cselect_b32 s7, -1, 0
	s_delay_alu instid0(SALU_CYCLE_1) | instskip(SKIP_4) | instid1(VALU_DEP_1)
	s_cmp_lg_u32 s7, 0
	s_addc_u32 s10, s8, 0
	s_load_b64 s[8:9], s[22:23], 0x20
	v_cvt_f32_u32_e32 v0, s10
	s_sub_i32 s11, 0, s10
	v_rcp_iflag_f32_e32 v0, v0
	s_waitcnt_depctr 0xfff
	v_mul_f32_e32 v0, 0x4f7ffffe, v0
	s_delay_alu instid0(VALU_DEP_1) | instskip(NEXT) | instid1(VALU_DEP_1)
	v_cvt_u32_f32_e32 v0, v0
	v_readfirstlane_b32 s7, v0
	s_delay_alu instid0(VALU_DEP_1) | instskip(NEXT) | instid1(SALU_CYCLE_1)
	s_mul_i32 s11, s11, s7
	s_mul_hi_u32 s11, s7, s11
	s_delay_alu instid0(SALU_CYCLE_1)
	s_add_i32 s7, s7, s11
	s_waitcnt lgkmcnt(0)
	s_cmp_eq_u64 s[8:9], 0
	s_mul_hi_u32 s11, s24, s7
	s_cbranch_scc1 .LBB78_6
; %bb.4:
	s_load_b32 s7, s[8:9], 0x0
	s_load_b64 s[8:9], s[22:23], 0x30
	s_waitcnt lgkmcnt(0)
	s_cmp_eq_u64 s[8:9], 0
	s_cbranch_scc1 .LBB78_7
.LBB78_5:
	s_load_b32 s12, s[8:9], 0x0
	s_branch .LBB78_8
.LBB78_6:
	s_clause 0x1
	s_load_b32 s7, s[22:23], 0x18
	s_load_b64 s[8:9], s[22:23], 0x30
	s_waitcnt lgkmcnt(0)
	s_cmp_eq_u64 s[8:9], 0
	s_cbranch_scc0 .LBB78_5
.LBB78_7:
	s_load_b32 s12, s[22:23], 0x28
.LBB78_8:
	s_mul_i32 s8, s11, s10
	s_add_i32 s9, s11, 1
	s_sub_i32 s8, s24, s8
	v_and_b32_e32 v0, 15, v41
	s_sub_i32 s13, s8, s10
	s_cmp_ge_u32 s8, s10
	v_lshrrev_b32_e32 v2, 4, v41
	s_cselect_b32 s9, s9, s11
	s_cselect_b32 s8, s13, s8
	s_add_i32 s11, s9, 1
	s_cmp_ge_u32 s8, s10
	s_cselect_b32 s8, s11, s9
	s_delay_alu instid0(SALU_CYCLE_1) | instskip(NEXT) | instid1(SALU_CYCLE_1)
	s_mul_i32 s9, s8, s10
	s_sub_i32 s9, s24, s9
	s_delay_alu instid0(SALU_CYCLE_1) | instskip(SKIP_1) | instid1(VALU_DEP_2)
	v_lshl_or_b32 v1, s9, 4, v0
	v_lshl_add_u32 v0, s8, 4, v2
	v_cmp_gt_u32_e32 vcc_lo, s0, v1
	s_delay_alu instid0(VALU_DEP_2) | instskip(NEXT) | instid1(VALU_DEP_1)
	v_cmp_gt_u32_e64 s0, s1, v0
	s_and_b32 s0, vcc_lo, s0
	s_delay_alu instid0(SALU_CYCLE_1)
	s_and_saveexec_b32 s1, s0
	s_cbranch_execz .LBB78_14
; %bb.9:
	s_clause 0x1
	s_load_b128 s[8:11], s[22:23], 0x0
	s_load_b64 s[0:1], s[22:23], 0x10
	v_dual_mov_b32 v3, 0 :: v_dual_mov_b32 v2, 0
	s_mul_i32 s21, s21, s5
	s_waitcnt lgkmcnt(0)
	s_cmp_eq_u64 s[10:11], 0
	s_cbranch_scc1 .LBB78_11
; %bb.10:
	s_bitcmp1_b32 s6, 0
	s_cselect_b32 vcc_lo, -1, 0
	v_cndmask_b32_e32 v2, v0, v1, vcc_lo
	v_cndmask_b32_e32 v4, v1, v0, vcc_lo
	s_delay_alu instid0(VALU_DEP_2) | instskip(NEXT) | instid1(VALU_DEP_1)
	v_mul_lo_u32 v2, v2, s2
	v_add3_u32 v2, v4, s21, v2
	global_load_i8 v2, v2, s[10:11]
	s_waitcnt vmcnt(0)
	v_cvt_f32_i32_e32 v2, v2
.LBB78_11:
	s_cmp_eq_u64 s[0:1], 0
	s_cbranch_scc1 .LBB78_13
; %bb.12:
	s_load_b32 s2, s[22:23], 0x50
	s_waitcnt lgkmcnt(0)
	s_bitcmp1_b32 s2, 8
	s_cselect_b32 vcc_lo, -1, 0
	v_dual_cndmask_b32 v3, v0, v1 :: v_dual_cndmask_b32 v4, v1, v0
	s_delay_alu instid0(VALU_DEP_1) | instskip(NEXT) | instid1(VALU_DEP_1)
	v_mul_lo_u32 v3, v3, s3
	v_add3_u32 v3, v4, s21, v3
	global_load_i8 v3, v3, s[0:1]
	s_waitcnt vmcnt(0)
	v_cvt_f32_i32_e32 v3, v3
.LBB78_13:
	s_delay_alu instid0(VALU_DEP_1) | instskip(SKIP_1) | instid1(VALU_DEP_2)
	v_mul_f32_e32 v3, s12, v3
	v_mul_lo_u32 v1, v1, s4
	v_fmac_f32_e32 v3, s7, v2
	s_delay_alu instid0(VALU_DEP_2) | instskip(NEXT) | instid1(VALU_DEP_2)
	v_add3_u32 v0, v0, s21, v1
	v_cvt_i32_f32_e32 v2, v3
	global_store_b8 v0, v2, s[8:9]
.LBB78_14:
	s_endpgm
	.section	.rodata,"a",@progbits
	.p2align	6, 0x0
	.amdhsa_kernel Transform_I8_S_001_16_16_VW_1
		.amdhsa_group_segment_fixed_size 0
		.amdhsa_private_segment_fixed_size 64
		.amdhsa_kernarg_size 344
		.amdhsa_user_sgpr_count 14
		.amdhsa_user_sgpr_dispatch_ptr 0
		.amdhsa_user_sgpr_queue_ptr 0
		.amdhsa_user_sgpr_kernarg_segment_ptr 1
		.amdhsa_user_sgpr_dispatch_id 0
		.amdhsa_user_sgpr_private_segment_size 0
		.amdhsa_wavefront_size32 1
		.amdhsa_uses_dynamic_stack 0
		.amdhsa_enable_private_segment 1
		.amdhsa_system_sgpr_workgroup_id_x 1
		.amdhsa_system_sgpr_workgroup_id_y 0
		.amdhsa_system_sgpr_workgroup_id_z 1
		.amdhsa_system_sgpr_workgroup_info 0
		.amdhsa_system_vgpr_workitem_id 0
		.amdhsa_next_free_vgpr 42
		.amdhsa_next_free_sgpr 34
		.amdhsa_reserve_vcc 1
		.amdhsa_float_round_mode_32 0
		.amdhsa_float_round_mode_16_64 0
		.amdhsa_float_denorm_mode_32 3
		.amdhsa_float_denorm_mode_16_64 3
		.amdhsa_dx10_clamp 1
		.amdhsa_ieee_mode 1
		.amdhsa_fp16_overflow 0
		.amdhsa_workgroup_processor_mode 1
		.amdhsa_memory_ordered 1
		.amdhsa_forward_progress 0
		.amdhsa_shared_vgpr_count 0
		.amdhsa_exception_fp_ieee_invalid_op 0
		.amdhsa_exception_fp_denorm_src 0
		.amdhsa_exception_fp_ieee_div_zero 0
		.amdhsa_exception_fp_ieee_overflow 0
		.amdhsa_exception_fp_ieee_underflow 0
		.amdhsa_exception_fp_ieee_inexact 0
		.amdhsa_exception_int_div_zero 0
	.end_amdhsa_kernel
	.text
.Lfunc_end78:
	.size	Transform_I8_S_001_16_16_VW_1, .Lfunc_end78-Transform_I8_S_001_16_16_VW_1
                                        ; -- End function
	.section	.AMDGPU.csdata,"",@progbits
; Kernel info:
; codeLenInByte = 672
; NumSgprs: 36
; NumVgprs: 42
; ScratchSize: 64
; MemoryBound: 0
; FloatMode: 240
; IeeeMode: 1
; LDSByteSize: 0 bytes/workgroup (compile time only)
; SGPRBlocks: 4
; VGPRBlocks: 5
; NumSGPRsForWavesPerEU: 36
; NumVGPRsForWavesPerEU: 42
; Occupancy: 16
; WaveLimiterHint : 1
; COMPUTE_PGM_RSRC2:SCRATCH_EN: 1
; COMPUTE_PGM_RSRC2:USER_SGPR: 14
; COMPUTE_PGM_RSRC2:TRAP_HANDLER: 0
; COMPUTE_PGM_RSRC2:TGID_X_EN: 1
; COMPUTE_PGM_RSRC2:TGID_Y_EN: 0
; COMPUTE_PGM_RSRC2:TGID_Z_EN: 1
; COMPUTE_PGM_RSRC2:TIDIG_COMP_CNT: 0
	.text
	.protected	Transform_I8_S_001_16_16_VW_4 ; -- Begin function Transform_I8_S_001_16_16_VW_4
	.globl	Transform_I8_S_001_16_16_VW_4
	.p2align	8
	.type	Transform_I8_S_001_16_16_VW_4,@function
Transform_I8_S_001_16_16_VW_4:          ; @Transform_I8_S_001_16_16_VW_4
; %bb.0:
	s_mov_b64 s[22:23], s[0:1]
	s_load_b32 s0, s[0:1], 0x64
	v_mov_b32_e32 v41, v0
	s_mov_b32 s24, s15
	s_mov_b32 s21, s14
	;; [unrolled: 1-line block ×3, first 2 shown]
	s_waitcnt lgkmcnt(0)
	v_cmp_eq_u16_e64 s0, 0x100, s0
	s_delay_alu instid0(VALU_DEP_1)
	s_and_b32 vcc_lo, exec_lo, s0
	s_mov_b32 s0, -1
	s_cbranch_vccnz .LBB79_2
; %bb.1:
	s_add_u32 s8, s22, 0x58
	s_addc_u32 s9, s23, 0
	s_getpc_b64 s[0:1]
	s_add_u32 s0, s0, __PRETTY_FUNCTION__._ZN10amd_detail9transformIafLb0ELb0ELb1ELj16ELj16ELj4EEEvPT_PKS1_S4_T0_PKS5_S5_S7_jjjjjjbb@rel32@lo+4
	s_addc_u32 s1, s1, __PRETTY_FUNCTION__._ZN10amd_detail9transformIafLb0ELb0ELb1ELj16ELj16ELj4EEEvPT_PKS1_S4_T0_PKS5_S5_S7_jjjjjjbb@rel32@hi+12
	s_delay_alu instid0(SALU_CYCLE_1) | instskip(SKIP_3) | instid1(SALU_CYCLE_1)
	v_dual_mov_b32 v0, s0 :: v_dual_mov_b32 v1, s1
	s_getpc_b64 s[2:3]
	s_add_u32 s2, s2, __assert_fail@rel32@lo+4
	s_addc_u32 s3, s3, __assert_fail@rel32@hi+12
	s_swappc_b64 s[30:31], s[2:3]
	; divergent unreachable
	s_mov_b32 s0, 0
.LBB79_2:
	s_delay_alu instid0(SALU_CYCLE_1)
	s_and_not1_b32 vcc_lo, exec_lo, s0
	s_cbranch_vccnz .LBB79_55
; %bb.3:
	s_load_b128 s[0:3], s[22:23], 0x38
	s_waitcnt lgkmcnt(0)
	s_and_b32 s4, s0, 15
	s_lshr_b32 s5, s0, 4
	s_cmp_lg_u32 s4, 0
	s_cselect_b32 s4, -1, 0
	s_delay_alu instid0(SALU_CYCLE_1) | instskip(SKIP_4) | instid1(VALU_DEP_1)
	s_cmp_lg_u32 s4, 0
	s_addc_u32 s6, s5, 0
	s_load_b64 s[4:5], s[22:23], 0x20
	v_cvt_f32_u32_e32 v0, s6
	s_sub_i32 s8, 0, s6
	v_rcp_iflag_f32_e32 v0, v0
	s_waitcnt_depctr 0xfff
	v_mul_f32_e32 v0, 0x4f7ffffe, v0
	s_delay_alu instid0(VALU_DEP_1) | instskip(NEXT) | instid1(VALU_DEP_1)
	v_cvt_u32_f32_e32 v0, v0
	v_readfirstlane_b32 s7, v0
	s_delay_alu instid0(VALU_DEP_1) | instskip(NEXT) | instid1(SALU_CYCLE_1)
	s_mul_i32 s8, s8, s7
	s_mul_hi_u32 s8, s7, s8
	s_delay_alu instid0(SALU_CYCLE_1)
	s_add_i32 s7, s7, s8
	s_waitcnt lgkmcnt(0)
	s_cmp_eq_u64 s[4:5], 0
	s_mul_hi_u32 s7, s21, s7
	s_cbranch_scc1 .LBB79_6
; %bb.4:
	s_load_b32 s15, s[4:5], 0x0
	s_load_b64 s[4:5], s[22:23], 0x30
	s_waitcnt lgkmcnt(0)
	s_cmp_eq_u64 s[4:5], 0
	s_cbranch_scc1 .LBB79_7
.LBB79_5:
	s_load_b32 s16, s[4:5], 0x0
	s_branch .LBB79_8
.LBB79_6:
	s_clause 0x1
	s_load_b32 s15, s[22:23], 0x18
	s_load_b64 s[4:5], s[22:23], 0x30
	s_waitcnt lgkmcnt(0)
	s_cmp_eq_u64 s[4:5], 0
	s_cbranch_scc0 .LBB79_5
.LBB79_7:
	s_load_b32 s16, s[22:23], 0x28
.LBB79_8:
	s_mul_i32 s4, s7, s6
	s_add_i32 s5, s7, 1
	s_sub_i32 s4, s21, s4
	v_and_b32_e32 v5, 15, v41
	s_sub_i32 s8, s4, s6
	s_cmp_ge_u32 s4, s6
	s_cselect_b32 s5, s5, s7
	s_cselect_b32 s4, s8, s4
	s_add_i32 s7, s5, 1
	s_cmp_ge_u32 s4, s6
	s_cselect_b32 s12, s7, s5
	s_delay_alu instid0(SALU_CYCLE_1) | instskip(NEXT) | instid1(SALU_CYCLE_1)
	s_mul_i32 s14, s12, s6
	s_sub_i32 s4, s21, s14
	s_delay_alu instid0(SALU_CYCLE_1) | instskip(NEXT) | instid1(VALU_DEP_1)
	v_lshl_or_b32 v1, s4, 4, v5
	v_cmp_gt_u32_e32 vcc_lo, s0, v1
	s_and_saveexec_b32 s0, vcc_lo
	s_cbranch_execz .LBB79_55
; %bb.9:
	v_lshrrev_b32_e32 v0, 2, v41
	s_clause 0x1
	s_load_b128 s[8:11], s[22:23], 0x48
	s_load_b128 s[4:7], s[22:23], 0x0
	s_waitcnt lgkmcnt(0)
	s_lshl_b32 s11, s12, 6
	s_load_b64 s[12:13], s[22:23], 0x10
	v_dual_mov_b32 v9, 0 :: v_dual_and_b32 v6, 0xfc, v0
	v_mov_b32_e32 v10, 0
	s_delay_alu instid0(VALU_DEP_2) | instskip(NEXT) | instid1(VALU_DEP_1)
	v_add_nc_u32_e32 v0, s11, v6
	v_add_nc_u32_e32 v7, 4, v0
	v_mad_u64_u32 v[2:3], null, v1, s2, v[0:1]
	s_bitcmp1_b32 s10, 0
	s_delay_alu instid0(VALU_DEP_2)
	v_sub_nc_u32_e64 v8, v7, s1 clamp
	s_cselect_b32 vcc_lo, -1, 0
	s_cmp_lg_u64 s[6:7], 0
	s_mul_i32 s24, s24, s9
	s_cselect_b32 s10, -1, 0
	v_sub_nc_u32_e32 v13, v0, v8
	v_sub_nc_u32_e32 v11, v2, v8
	s_cmp_eq_u64 s[6:7], 0
	s_cbranch_scc1 .LBB79_11
; %bb.10:
	s_delay_alu instid0(VALU_DEP_2) | instskip(NEXT) | instid1(VALU_DEP_1)
	v_mad_u64_u32 v[2:3], null, v13, s2, v[1:2]
	v_cndmask_b32_e32 v2, v2, v11, vcc_lo
	s_delay_alu instid0(VALU_DEP_1)
	v_add_nc_u32_e32 v2, s24, v2
	global_load_i8 v2, v2, s[6:7]
	s_waitcnt vmcnt(0)
	v_cvt_f32_i32_e32 v9, v2
.LBB79_11:
	s_load_b32 s0, s[22:23], 0x50
	v_mad_u64_u32 v[2:3], null, v1, s3, v[0:1]
	s_xor_b32 s17, vcc_lo, -1
	s_delay_alu instid0(VALU_DEP_1)
	v_sub_nc_u32_e32 v12, v2, v8
	s_waitcnt lgkmcnt(0)
	s_bitcmp1_b32 s0, 8
	s_cselect_b32 s0, -1, 0
	s_cmp_lg_u64 s[12:13], 0
	s_cselect_b32 s9, -1, 0
	s_cmp_eq_u64 s[12:13], 0
	s_cbranch_scc1 .LBB79_13
; %bb.12:
	v_mad_u64_u32 v[2:3], null, v13, s3, v[1:2]
	s_delay_alu instid0(VALU_DEP_1) | instskip(NEXT) | instid1(VALU_DEP_1)
	v_cndmask_b32_e64 v2, v2, v12, s0
	v_add_nc_u32_e32 v2, s24, v2
	global_load_i8 v2, v2, s[12:13]
	s_waitcnt vmcnt(0)
	v_cvt_f32_i32_e32 v10, v2
.LBB79_13:
	v_cndmask_b32_e64 v16, 0, 1, s17
	s_and_not1_b32 vcc_lo, exec_lo, s17
	s_cbranch_vccnz .LBB79_15
; %bb.14:
	v_mul_lo_u32 v2, s2, v13
	s_delay_alu instid0(VALU_DEP_1)
	v_add3_u32 v2, v2, s2, v1
	s_xor_b32 s0, s0, -1
	s_cbranch_execz .LBB79_16
	s_branch .LBB79_17
.LBB79_15:
                                        ; implicit-def: $vgpr2
	s_xor_b32 s0, s0, -1
.LBB79_16:
	v_add_nc_u32_e32 v2, 1, v11
.LBB79_17:
	v_cndmask_b32_e64 v17, 0, 1, s0
	s_and_not1_b32 vcc_lo, exec_lo, s0
	s_cbranch_vccnz .LBB79_19
; %bb.18:
	v_mul_lo_u32 v3, s3, v13
	s_delay_alu instid0(VALU_DEP_1)
	v_add3_u32 v3, v3, s3, v1
	s_cbranch_execz .LBB79_20
	s_branch .LBB79_21
.LBB79_19:
                                        ; implicit-def: $vgpr3
.LBB79_20:
	v_add_nc_u32_e32 v3, 1, v12
.LBB79_21:
	v_cndmask_b32_e64 v18, 0, 1, s10
	v_dual_mov_b32 v15, 0 :: v_dual_mov_b32 v14, 0
	s_and_not1_b32 vcc_lo, exec_lo, s10
	s_cbranch_vccnz .LBB79_23
; %bb.22:
	v_add_nc_u32_e32 v2, s24, v2
	global_load_i8 v2, v2, s[6:7]
	s_waitcnt vmcnt(0)
	v_cvt_f32_i32_e32 v14, v2
.LBB79_23:
	v_cndmask_b32_e64 v19, 0, 1, s9
	s_and_not1_b32 vcc_lo, exec_lo, s9
	s_cbranch_vccnz .LBB79_25
; %bb.24:
	v_add_nc_u32_e32 v2, s24, v3
	global_load_i8 v2, v2, s[12:13]
	s_waitcnt vmcnt(0)
	v_cvt_f32_i32_e32 v15, v2
.LBB79_25:
	v_cmp_ne_u32_e32 vcc_lo, 1, v16
	v_add_nc_u32_e32 v20, 2, v13
	s_cbranch_vccnz .LBB79_27
; %bb.26:
	s_delay_alu instid0(VALU_DEP_1)
	v_mad_u64_u32 v[2:3], null, v20, s2, v[1:2]
	s_cbranch_execz .LBB79_28
	s_branch .LBB79_29
.LBB79_27:
                                        ; implicit-def: $vgpr2
.LBB79_28:
	v_add_nc_u32_e32 v2, 2, v11
.LBB79_29:
	v_cmp_ne_u32_e32 vcc_lo, 1, v17
	s_cbranch_vccnz .LBB79_31
; %bb.30:
	s_delay_alu instid0(VALU_DEP_2)
	v_mad_u64_u32 v[3:4], null, v20, s3, v[1:2]
	s_cbranch_execz .LBB79_32
	s_branch .LBB79_33
.LBB79_31:
                                        ; implicit-def: $vgpr3
.LBB79_32:
	v_add_nc_u32_e32 v3, 2, v12
.LBB79_33:
	v_cmp_ne_u32_e32 vcc_lo, 1, v18
	v_dual_mov_b32 v21, 0 :: v_dual_mov_b32 v20, 0
	s_cbranch_vccnz .LBB79_35
; %bb.34:
	v_add_nc_u32_e32 v2, s24, v2
	global_load_i8 v2, v2, s[6:7]
	s_waitcnt vmcnt(0)
	v_cvt_f32_i32_e32 v20, v2
.LBB79_35:
	v_cmp_ne_u32_e32 vcc_lo, 1, v19
	s_cbranch_vccnz .LBB79_37
; %bb.36:
	v_add_nc_u32_e32 v2, s24, v3
	global_load_i8 v2, v2, s[12:13]
	s_waitcnt vmcnt(0)
	v_cvt_f32_i32_e32 v21, v2
.LBB79_37:
	v_cmp_ne_u32_e32 vcc_lo, 1, v16
	v_add_nc_u32_e32 v13, 3, v13
	s_cbranch_vccnz .LBB79_39
; %bb.38:
	s_delay_alu instid0(VALU_DEP_1)
	v_mad_u64_u32 v[2:3], null, v13, s2, v[1:2]
	s_cbranch_execz .LBB79_40
	s_branch .LBB79_41
.LBB79_39:
                                        ; implicit-def: $vgpr2
.LBB79_40:
	v_add_nc_u32_e32 v2, 3, v11
.LBB79_41:
	v_cmp_ne_u32_e32 vcc_lo, 1, v17
	s_cbranch_vccnz .LBB79_43
; %bb.42:
	s_delay_alu instid0(VALU_DEP_2)
	v_mad_u64_u32 v[3:4], null, v13, s3, v[1:2]
	s_cbranch_execz .LBB79_44
	s_branch .LBB79_45
.LBB79_43:
                                        ; implicit-def: $vgpr3
.LBB79_44:
	v_add_nc_u32_e32 v3, 3, v12
.LBB79_45:
	v_cmp_ne_u32_e32 vcc_lo, 1, v18
	v_dual_mov_b32 v11, 0 :: v_dual_mov_b32 v4, 0
	s_cbranch_vccnz .LBB79_47
; %bb.46:
	v_add_nc_u32_e32 v2, s24, v2
	global_load_i8 v2, v2, s[6:7]
	s_waitcnt vmcnt(0)
	v_cvt_f32_i32_e32 v4, v2
.LBB79_47:
	v_cmp_ne_u32_e32 vcc_lo, 1, v19
	s_cbranch_vccnz .LBB79_49
; %bb.48:
	v_add_nc_u32_e32 v2, s24, v3
	global_load_i8 v2, v2, s[12:13]
	s_waitcnt vmcnt(0)
	v_cvt_f32_i32_e32 v11, v2
.LBB79_49:
	s_delay_alu instid0(VALU_DEP_1) | instskip(SKIP_3) | instid1(VALU_DEP_3)
	v_dual_mul_f32 v2, s16, v10 :: v_dual_mul_f32 v11, s16, v11
	v_mul_f32_e32 v10, s16, v15
	v_mul_f32_e32 v12, s16, v21
	s_mov_b32 s0, exec_lo
	v_dual_fmac_f32 v2, s15, v9 :: v_dual_fmac_f32 v11, s15, v4
	s_delay_alu instid0(VALU_DEP_3) | instskip(NEXT) | instid1(VALU_DEP_3)
	v_fmac_f32_e32 v10, s15, v14
	v_fmac_f32_e32 v12, s15, v20
	s_delay_alu instid0(VALU_DEP_3) | instskip(NEXT) | instid1(VALU_DEP_4)
	v_cvt_i32_f32_e32 v3, v2
	v_cvt_i32_f32_e32 v4, v11
	s_delay_alu instid0(VALU_DEP_4) | instskip(NEXT) | instid1(VALU_DEP_4)
	v_cvt_i32_f32_e32 v9, v10
	v_cvt_i32_f32_e32 v2, v12
	v_cmpx_ge_u32_e64 s1, v7
	s_xor_b32 s0, exec_lo, s0
; %bb.50:
	v_mul_lo_u32 v1, v1, s8
                                        ; implicit-def: $vgpr7
	s_delay_alu instid0(VALU_DEP_1) | instskip(NEXT) | instid1(VALU_DEP_1)
	v_add3_u32 v0, v0, s24, v1
	v_sub_nc_u32_e32 v0, v0, v8
                                        ; implicit-def: $vgpr8
	s_delay_alu instid0(VALU_DEP_1)
	v_add_nc_u32_e32 v1, 1, v0
	v_add_nc_u32_e32 v5, 2, v0
	;; [unrolled: 1-line block ×3, first 2 shown]
	s_clause 0x3
	global_store_b8 v0, v3, s[4:5]
	global_store_b8 v1, v9, s[4:5]
	;; [unrolled: 1-line block ×4, first 2 shown]
                                        ; implicit-def: $vgpr5
                                        ; implicit-def: $vgpr6
                                        ; implicit-def: $vgpr0
                                        ; implicit-def: $vgpr3
                                        ; implicit-def: $vgpr9
                                        ; implicit-def: $vgpr2
                                        ; implicit-def: $vgpr4
; %bb.51:
	s_and_not1_saveexec_b32 s0, s0
	s_cbranch_execz .LBB79_55
; %bb.52:
	v_cmp_gt_u32_e32 vcc_lo, 4, v8
	s_and_b32 exec_lo, exec_lo, vcc_lo
	s_cbranch_execz .LBB79_55
; %bb.53:
	v_lshlrev_b16 v1, 8, v9
	v_and_b32_e32 v3, 0xff, v3
	v_lshl_or_b32 v5, s21, 4, v5
	v_lshlrev_b16 v4, 8, v4
	v_and_b32_e32 v2, 0xff, v2
	s_lshl_b32 s0, s14, 4
	v_or_b32_e32 v1, v3, v1
	v_subrev_nc_u32_e32 v3, s0, v5
	s_add_i32 s11, s11, s24
	v_or_b32_e32 v2, v2, v4
	v_min_u32_e32 v4, s1, v7
	v_and_b32_e32 v1, 0xffff, v1
	v_mul_lo_u32 v3, s8, v3
	s_mov_b32 s0, 0
	v_lshlrev_b32_e32 v2, 16, v2
	v_sub_nc_u32_e32 v4, v0, v4
	s_delay_alu instid0(VALU_DEP_2) | instskip(NEXT) | instid1(VALU_DEP_2)
	v_or_b32_e32 v0, v1, v2
	v_add_nc_u32_e32 v1, 3, v4
	v_add3_u32 v2, s11, v3, v6
.LBB79_54:                              ; =>This Inner Loop Header: Depth=1
	s_delay_alu instid0(VALU_DEP_2) | instskip(NEXT) | instid1(VALU_DEP_1)
	v_add_nc_u32_e32 v1, 1, v1
	v_lshlrev_b32_e32 v3, 3, v1
	v_cmp_lt_u32_e32 vcc_lo, 2, v1
	s_delay_alu instid0(VALU_DEP_2)
	v_lshrrev_b32_e32 v3, v3, v0
	s_or_b32 s0, vcc_lo, s0
	global_store_b8 v2, v3, s[4:5]
	v_add_nc_u32_e32 v2, 1, v2
	s_and_not1_b32 exec_lo, exec_lo, s0
	s_cbranch_execnz .LBB79_54
.LBB79_55:
	s_endpgm
	.section	.rodata,"a",@progbits
	.p2align	6, 0x0
	.amdhsa_kernel Transform_I8_S_001_16_16_VW_4
		.amdhsa_group_segment_fixed_size 0
		.amdhsa_private_segment_fixed_size 64
		.amdhsa_kernarg_size 344
		.amdhsa_user_sgpr_count 14
		.amdhsa_user_sgpr_dispatch_ptr 0
		.amdhsa_user_sgpr_queue_ptr 0
		.amdhsa_user_sgpr_kernarg_segment_ptr 1
		.amdhsa_user_sgpr_dispatch_id 0
		.amdhsa_user_sgpr_private_segment_size 0
		.amdhsa_wavefront_size32 1
		.amdhsa_uses_dynamic_stack 0
		.amdhsa_enable_private_segment 1
		.amdhsa_system_sgpr_workgroup_id_x 1
		.amdhsa_system_sgpr_workgroup_id_y 0
		.amdhsa_system_sgpr_workgroup_id_z 1
		.amdhsa_system_sgpr_workgroup_info 0
		.amdhsa_system_vgpr_workitem_id 0
		.amdhsa_next_free_vgpr 42
		.amdhsa_next_free_sgpr 34
		.amdhsa_reserve_vcc 1
		.amdhsa_float_round_mode_32 0
		.amdhsa_float_round_mode_16_64 0
		.amdhsa_float_denorm_mode_32 3
		.amdhsa_float_denorm_mode_16_64 3
		.amdhsa_dx10_clamp 1
		.amdhsa_ieee_mode 1
		.amdhsa_fp16_overflow 0
		.amdhsa_workgroup_processor_mode 1
		.amdhsa_memory_ordered 1
		.amdhsa_forward_progress 0
		.amdhsa_shared_vgpr_count 0
		.amdhsa_exception_fp_ieee_invalid_op 0
		.amdhsa_exception_fp_denorm_src 0
		.amdhsa_exception_fp_ieee_div_zero 0
		.amdhsa_exception_fp_ieee_overflow 0
		.amdhsa_exception_fp_ieee_underflow 0
		.amdhsa_exception_fp_ieee_inexact 0
		.amdhsa_exception_int_div_zero 0
	.end_amdhsa_kernel
	.text
.Lfunc_end79:
	.size	Transform_I8_S_001_16_16_VW_4, .Lfunc_end79-Transform_I8_S_001_16_16_VW_4
                                        ; -- End function
	.section	.AMDGPU.csdata,"",@progbits
; Kernel info:
; codeLenInByte = 1472
; NumSgprs: 36
; NumVgprs: 42
; ScratchSize: 64
; MemoryBound: 0
; FloatMode: 240
; IeeeMode: 1
; LDSByteSize: 0 bytes/workgroup (compile time only)
; SGPRBlocks: 4
; VGPRBlocks: 5
; NumSGPRsForWavesPerEU: 36
; NumVGPRsForWavesPerEU: 42
; Occupancy: 16
; WaveLimiterHint : 1
; COMPUTE_PGM_RSRC2:SCRATCH_EN: 1
; COMPUTE_PGM_RSRC2:USER_SGPR: 14
; COMPUTE_PGM_RSRC2:TRAP_HANDLER: 0
; COMPUTE_PGM_RSRC2:TGID_X_EN: 1
; COMPUTE_PGM_RSRC2:TGID_Y_EN: 0
; COMPUTE_PGM_RSRC2:TGID_Z_EN: 1
; COMPUTE_PGM_RSRC2:TIDIG_COMP_CNT: 0
	.text
	.protected	Transform_I8_S_000_16_16_VW_1 ; -- Begin function Transform_I8_S_000_16_16_VW_1
	.globl	Transform_I8_S_000_16_16_VW_1
	.p2align	8
	.type	Transform_I8_S_000_16_16_VW_1,@function
Transform_I8_S_000_16_16_VW_1:          ; @Transform_I8_S_000_16_16_VW_1
; %bb.0:
	s_mov_b64 s[22:23], s[0:1]
	s_load_b32 s0, s[0:1], 0x64
	v_mov_b32_e32 v41, v0
	s_mov_b32 s21, s15
	s_mov_b32 s24, s14
	;; [unrolled: 1-line block ×3, first 2 shown]
	s_waitcnt lgkmcnt(0)
	v_cmp_eq_u16_e64 s0, 0x100, s0
	s_delay_alu instid0(VALU_DEP_1)
	s_and_b32 vcc_lo, exec_lo, s0
	s_mov_b32 s0, -1
	s_cbranch_vccnz .LBB80_2
; %bb.1:
	s_add_u32 s8, s22, 0x58
	s_addc_u32 s9, s23, 0
	s_getpc_b64 s[0:1]
	s_add_u32 s0, s0, __PRETTY_FUNCTION__._ZN10amd_detail9transformIafLb0ELb0ELb0ELj16ELj16ELj1EEEvPT_PKS1_S4_T0_PKS5_S5_S7_jjjjjjbb@rel32@lo+4
	s_addc_u32 s1, s1, __PRETTY_FUNCTION__._ZN10amd_detail9transformIafLb0ELb0ELb0ELj16ELj16ELj1EEEvPT_PKS1_S4_T0_PKS5_S5_S7_jjjjjjbb@rel32@hi+12
	s_delay_alu instid0(SALU_CYCLE_1) | instskip(SKIP_3) | instid1(SALU_CYCLE_1)
	v_dual_mov_b32 v0, s0 :: v_dual_mov_b32 v1, s1
	s_getpc_b64 s[2:3]
	s_add_u32 s2, s2, __assert_fail@rel32@lo+4
	s_addc_u32 s3, s3, __assert_fail@rel32@hi+12
	s_swappc_b64 s[30:31], s[2:3]
	; divergent unreachable
	s_mov_b32 s0, 0
.LBB80_2:
	s_delay_alu instid0(SALU_CYCLE_1)
	s_and_not1_b32 vcc_lo, exec_lo, s0
	s_cbranch_vccnz .LBB80_14
; %bb.3:
	s_load_b256 s[0:7], s[22:23], 0x38
	s_waitcnt lgkmcnt(0)
	s_and_b32 s7, s0, 15
	s_lshr_b32 s8, s0, 4
	s_cmp_lg_u32 s7, 0
	s_cselect_b32 s7, -1, 0
	s_delay_alu instid0(SALU_CYCLE_1) | instskip(SKIP_4) | instid1(VALU_DEP_1)
	s_cmp_lg_u32 s7, 0
	s_addc_u32 s10, s8, 0
	s_load_b64 s[8:9], s[22:23], 0x20
	v_cvt_f32_u32_e32 v0, s10
	s_sub_i32 s11, 0, s10
	v_rcp_iflag_f32_e32 v0, v0
	s_waitcnt_depctr 0xfff
	v_mul_f32_e32 v0, 0x4f7ffffe, v0
	s_delay_alu instid0(VALU_DEP_1) | instskip(NEXT) | instid1(VALU_DEP_1)
	v_cvt_u32_f32_e32 v0, v0
	v_readfirstlane_b32 s7, v0
	s_delay_alu instid0(VALU_DEP_1) | instskip(NEXT) | instid1(SALU_CYCLE_1)
	s_mul_i32 s11, s11, s7
	s_mul_hi_u32 s11, s7, s11
	s_delay_alu instid0(SALU_CYCLE_1)
	s_add_i32 s7, s7, s11
	s_waitcnt lgkmcnt(0)
	s_cmp_eq_u64 s[8:9], 0
	s_mul_hi_u32 s11, s24, s7
	s_cbranch_scc1 .LBB80_6
; %bb.4:
	s_load_b32 s7, s[8:9], 0x0
	s_load_b64 s[8:9], s[22:23], 0x30
	s_waitcnt lgkmcnt(0)
	s_cmp_eq_u64 s[8:9], 0
	s_cbranch_scc1 .LBB80_7
.LBB80_5:
	s_load_b32 s12, s[8:9], 0x0
	s_branch .LBB80_8
.LBB80_6:
	s_clause 0x1
	s_load_b32 s7, s[22:23], 0x18
	s_load_b64 s[8:9], s[22:23], 0x30
	s_waitcnt lgkmcnt(0)
	s_cmp_eq_u64 s[8:9], 0
	s_cbranch_scc0 .LBB80_5
.LBB80_7:
	s_load_b32 s12, s[22:23], 0x28
.LBB80_8:
	s_mul_i32 s8, s11, s10
	s_add_i32 s9, s11, 1
	s_sub_i32 s8, s24, s8
	v_and_b32_e32 v0, 15, v41
	s_sub_i32 s13, s8, s10
	s_cmp_ge_u32 s8, s10
	v_lshrrev_b32_e32 v1, 4, v41
	s_cselect_b32 s9, s9, s11
	s_cselect_b32 s8, s13, s8
	s_add_i32 s11, s9, 1
	s_cmp_ge_u32 s8, s10
	s_cselect_b32 s8, s11, s9
	s_delay_alu instid0(SALU_CYCLE_1) | instskip(SKIP_2) | instid1(SALU_CYCLE_1)
	s_mul_i32 s9, s8, s10
	v_lshl_add_u32 v1, s8, 4, v1
	s_sub_i32 s9, s24, s9
	v_lshl_or_b32 v0, s9, 4, v0
	s_delay_alu instid0(VALU_DEP_1) | instskip(NEXT) | instid1(VALU_DEP_3)
	v_cmp_gt_u32_e32 vcc_lo, s0, v0
	v_cmp_gt_u32_e64 s0, s1, v1
	s_delay_alu instid0(VALU_DEP_1) | instskip(NEXT) | instid1(SALU_CYCLE_1)
	s_and_b32 s0, vcc_lo, s0
	s_and_saveexec_b32 s1, s0
	s_cbranch_execz .LBB80_14
; %bb.9:
	s_clause 0x1
	s_load_b128 s[8:11], s[22:23], 0x0
	s_load_b64 s[0:1], s[22:23], 0x10
	v_dual_mov_b32 v3, 0 :: v_dual_mov_b32 v2, 0
	s_mul_i32 s21, s21, s5
	s_waitcnt lgkmcnt(0)
	s_cmp_eq_u64 s[10:11], 0
	s_cbranch_scc1 .LBB80_11
; %bb.10:
	s_bitcmp1_b32 s6, 0
	s_cselect_b32 vcc_lo, -1, 0
	v_cndmask_b32_e32 v2, v1, v0, vcc_lo
	v_cndmask_b32_e32 v4, v0, v1, vcc_lo
	s_delay_alu instid0(VALU_DEP_2) | instskip(NEXT) | instid1(VALU_DEP_1)
	v_mul_lo_u32 v2, v2, s2
	v_add3_u32 v2, v4, s21, v2
	global_load_i8 v2, v2, s[10:11]
	s_waitcnt vmcnt(0)
	v_cvt_f32_i32_e32 v2, v2
.LBB80_11:
	s_cmp_eq_u64 s[0:1], 0
	s_cbranch_scc1 .LBB80_13
; %bb.12:
	s_load_b32 s2, s[22:23], 0x50
	s_waitcnt lgkmcnt(0)
	s_bitcmp1_b32 s2, 8
	s_cselect_b32 vcc_lo, -1, 0
	v_dual_cndmask_b32 v3, v1, v0 :: v_dual_cndmask_b32 v4, v0, v1
	s_delay_alu instid0(VALU_DEP_1) | instskip(NEXT) | instid1(VALU_DEP_1)
	v_mul_lo_u32 v3, v3, s3
	v_add3_u32 v3, v4, s21, v3
	global_load_i8 v3, v3, s[0:1]
	s_waitcnt vmcnt(0)
	v_cvt_f32_i32_e32 v3, v3
.LBB80_13:
	s_delay_alu instid0(VALU_DEP_1) | instskip(SKIP_1) | instid1(VALU_DEP_2)
	v_mul_f32_e32 v3, s12, v3
	v_mul_lo_u32 v1, v1, s4
	v_fmac_f32_e32 v3, s7, v2
	s_delay_alu instid0(VALU_DEP_2) | instskip(NEXT) | instid1(VALU_DEP_2)
	v_add3_u32 v0, v0, s21, v1
	v_cvt_i32_f32_e32 v2, v3
	global_store_b8 v0, v2, s[8:9]
.LBB80_14:
	s_endpgm
	.section	.rodata,"a",@progbits
	.p2align	6, 0x0
	.amdhsa_kernel Transform_I8_S_000_16_16_VW_1
		.amdhsa_group_segment_fixed_size 0
		.amdhsa_private_segment_fixed_size 64
		.amdhsa_kernarg_size 344
		.amdhsa_user_sgpr_count 14
		.amdhsa_user_sgpr_dispatch_ptr 0
		.amdhsa_user_sgpr_queue_ptr 0
		.amdhsa_user_sgpr_kernarg_segment_ptr 1
		.amdhsa_user_sgpr_dispatch_id 0
		.amdhsa_user_sgpr_private_segment_size 0
		.amdhsa_wavefront_size32 1
		.amdhsa_uses_dynamic_stack 0
		.amdhsa_enable_private_segment 1
		.amdhsa_system_sgpr_workgroup_id_x 1
		.amdhsa_system_sgpr_workgroup_id_y 0
		.amdhsa_system_sgpr_workgroup_id_z 1
		.amdhsa_system_sgpr_workgroup_info 0
		.amdhsa_system_vgpr_workitem_id 0
		.amdhsa_next_free_vgpr 42
		.amdhsa_next_free_sgpr 34
		.amdhsa_reserve_vcc 1
		.amdhsa_float_round_mode_32 0
		.amdhsa_float_round_mode_16_64 0
		.amdhsa_float_denorm_mode_32 3
		.amdhsa_float_denorm_mode_16_64 3
		.amdhsa_dx10_clamp 1
		.amdhsa_ieee_mode 1
		.amdhsa_fp16_overflow 0
		.amdhsa_workgroup_processor_mode 1
		.amdhsa_memory_ordered 1
		.amdhsa_forward_progress 0
		.amdhsa_shared_vgpr_count 0
		.amdhsa_exception_fp_ieee_invalid_op 0
		.amdhsa_exception_fp_denorm_src 0
		.amdhsa_exception_fp_ieee_div_zero 0
		.amdhsa_exception_fp_ieee_overflow 0
		.amdhsa_exception_fp_ieee_underflow 0
		.amdhsa_exception_fp_ieee_inexact 0
		.amdhsa_exception_int_div_zero 0
	.end_amdhsa_kernel
	.text
.Lfunc_end80:
	.size	Transform_I8_S_000_16_16_VW_1, .Lfunc_end80-Transform_I8_S_000_16_16_VW_1
                                        ; -- End function
	.section	.AMDGPU.csdata,"",@progbits
; Kernel info:
; codeLenInByte = 668
; NumSgprs: 36
; NumVgprs: 42
; ScratchSize: 64
; MemoryBound: 0
; FloatMode: 240
; IeeeMode: 1
; LDSByteSize: 0 bytes/workgroup (compile time only)
; SGPRBlocks: 4
; VGPRBlocks: 5
; NumSGPRsForWavesPerEU: 36
; NumVGPRsForWavesPerEU: 42
; Occupancy: 16
; WaveLimiterHint : 1
; COMPUTE_PGM_RSRC2:SCRATCH_EN: 1
; COMPUTE_PGM_RSRC2:USER_SGPR: 14
; COMPUTE_PGM_RSRC2:TRAP_HANDLER: 0
; COMPUTE_PGM_RSRC2:TGID_X_EN: 1
; COMPUTE_PGM_RSRC2:TGID_Y_EN: 0
; COMPUTE_PGM_RSRC2:TGID_Z_EN: 1
; COMPUTE_PGM_RSRC2:TIDIG_COMP_CNT: 0
	.text
	.protected	Transform_I8_S_000_16_16_VW_4 ; -- Begin function Transform_I8_S_000_16_16_VW_4
	.globl	Transform_I8_S_000_16_16_VW_4
	.p2align	8
	.type	Transform_I8_S_000_16_16_VW_4,@function
Transform_I8_S_000_16_16_VW_4:          ; @Transform_I8_S_000_16_16_VW_4
; %bb.0:
	s_mov_b64 s[22:23], s[0:1]
	s_load_b32 s0, s[0:1], 0x64
	v_mov_b32_e32 v41, v0
	s_mov_b32 s24, s15
	s_mov_b32 s21, s14
	;; [unrolled: 1-line block ×3, first 2 shown]
	s_waitcnt lgkmcnt(0)
	v_cmp_eq_u16_e64 s0, 0x100, s0
	s_delay_alu instid0(VALU_DEP_1)
	s_and_b32 vcc_lo, exec_lo, s0
	s_mov_b32 s0, -1
	s_cbranch_vccnz .LBB81_2
; %bb.1:
	s_add_u32 s8, s22, 0x58
	s_addc_u32 s9, s23, 0
	s_getpc_b64 s[0:1]
	s_add_u32 s0, s0, __PRETTY_FUNCTION__._ZN10amd_detail9transformIafLb0ELb0ELb0ELj16ELj16ELj4EEEvPT_PKS1_S4_T0_PKS5_S5_S7_jjjjjjbb@rel32@lo+4
	s_addc_u32 s1, s1, __PRETTY_FUNCTION__._ZN10amd_detail9transformIafLb0ELb0ELb0ELj16ELj16ELj4EEEvPT_PKS1_S4_T0_PKS5_S5_S7_jjjjjjbb@rel32@hi+12
	s_delay_alu instid0(SALU_CYCLE_1) | instskip(SKIP_3) | instid1(SALU_CYCLE_1)
	v_dual_mov_b32 v0, s0 :: v_dual_mov_b32 v1, s1
	s_getpc_b64 s[2:3]
	s_add_u32 s2, s2, __assert_fail@rel32@lo+4
	s_addc_u32 s3, s3, __assert_fail@rel32@hi+12
	s_swappc_b64 s[30:31], s[2:3]
	; divergent unreachable
	s_mov_b32 s0, 0
.LBB81_2:
	s_delay_alu instid0(SALU_CYCLE_1)
	s_and_not1_b32 vcc_lo, exec_lo, s0
	s_cbranch_vccnz .LBB81_55
; %bb.3:
	s_load_b256 s[4:11], s[22:23], 0x38
	s_waitcnt lgkmcnt(0)
	s_and_b32 s0, s4, 63
	s_lshr_b32 s1, s4, 6
	s_cmp_lg_u32 s0, 0
	s_cselect_b32 s0, -1, 0
	s_delay_alu instid0(SALU_CYCLE_1) | instskip(SKIP_4) | instid1(VALU_DEP_1)
	s_cmp_lg_u32 s0, 0
	s_addc_u32 s2, s1, 0
	s_load_b64 s[0:1], s[22:23], 0x20
	v_cvt_f32_u32_e32 v0, s2
	s_sub_i32 s11, 0, s2
	v_rcp_iflag_f32_e32 v0, v0
	s_waitcnt_depctr 0xfff
	v_mul_f32_e32 v0, 0x4f7ffffe, v0
	s_delay_alu instid0(VALU_DEP_1) | instskip(NEXT) | instid1(VALU_DEP_1)
	v_cvt_u32_f32_e32 v0, v0
	v_readfirstlane_b32 s3, v0
	s_delay_alu instid0(VALU_DEP_1) | instskip(NEXT) | instid1(SALU_CYCLE_1)
	s_mul_i32 s11, s11, s3
	s_mul_hi_u32 s11, s3, s11
	s_delay_alu instid0(SALU_CYCLE_1)
	s_add_i32 s3, s3, s11
	s_waitcnt lgkmcnt(0)
	s_cmp_eq_u64 s[0:1], 0
	s_mul_hi_u32 s3, s21, s3
	s_cbranch_scc1 .LBB81_6
; %bb.4:
	s_load_b32 s11, s[0:1], 0x0
	s_load_b64 s[0:1], s[22:23], 0x30
	s_waitcnt lgkmcnt(0)
	s_cmp_eq_u64 s[0:1], 0
	s_cbranch_scc1 .LBB81_7
.LBB81_5:
	s_load_b32 s16, s[0:1], 0x0
	s_branch .LBB81_8
.LBB81_6:
	s_clause 0x1
	s_load_b32 s11, s[22:23], 0x18
	s_load_b64 s[0:1], s[22:23], 0x30
	s_waitcnt lgkmcnt(0)
	s_cmp_eq_u64 s[0:1], 0
	s_cbranch_scc0 .LBB81_5
.LBB81_7:
	s_load_b32 s16, s[22:23], 0x28
.LBB81_8:
	s_mul_i32 s0, s3, s2
	s_add_i32 s1, s3, 1
	s_sub_i32 s0, s21, s0
	v_lshrrev_b32_e32 v0, 4, v41
	s_sub_i32 s12, s0, s2
	s_cmp_ge_u32 s0, s2
	s_cselect_b32 s1, s1, s3
	s_cselect_b32 s0, s12, s0
	s_add_i32 s3, s1, 1
	s_cmp_ge_u32 s0, s2
	s_mov_b32 s0, exec_lo
	s_cselect_b32 s1, s3, s1
	s_delay_alu instid0(SALU_CYCLE_1) | instskip(NEXT) | instid1(VALU_DEP_1)
	v_lshl_add_u32 v0, s1, 4, v0
	v_cmpx_gt_u32_e64 s5, v0
	s_cbranch_execz .LBB81_55
; %bb.9:
	v_dual_mov_b32 v10, 0 :: v_dual_lshlrev_b32 v1, 2, v41
	s_mul_i32 s1, s1, s2
	s_clause 0x1
	s_load_b128 s[12:15], s[22:23], 0x0
	s_load_b64 s[2:3], s[22:23], 0x10
	v_dual_mov_b32 v11, 0 :: v_dual_and_b32 v6, 60, v1
	s_sub_i32 s0, s21, s1
	s_bitcmp1_b32 s10, 0
	s_mul_i32 s24, s24, s9
	s_delay_alu instid0(VALU_DEP_1) | instskip(SKIP_1) | instid1(VALU_DEP_1)
	v_lshl_or_b32 v8, s0, 6, v6
	s_cselect_b32 vcc_lo, -1, 0
	v_add_nc_u32_e32 v9, 4, v8
	s_delay_alu instid0(VALU_DEP_1) | instskip(SKIP_3) | instid1(VALU_DEP_1)
	v_sub_nc_u32_e64 v7, v9, s4 clamp
	s_waitcnt lgkmcnt(0)
	s_cmp_lg_u64 s[14:15], 0
	s_cselect_b32 s5, -1, 0
	v_sub_nc_u32_e32 v1, v8, v7
	s_cmp_eq_u64 s[14:15], 0
	s_delay_alu instid0(VALU_DEP_1)
	v_mad_u64_u32 v[2:3], null, v0, s6, v[1:2]
	s_cbranch_scc1 .LBB81_11
; %bb.10:
	v_mad_u64_u32 v[3:4], null, v1, s6, v[0:1]
	s_delay_alu instid0(VALU_DEP_1) | instskip(NEXT) | instid1(VALU_DEP_1)
	v_cndmask_b32_e32 v3, v2, v3, vcc_lo
	v_add_nc_u32_e32 v3, s24, v3
	global_load_i8 v3, v3, s[14:15]
	s_waitcnt vmcnt(0)
	v_cvt_f32_i32_e32 v10, v3
.LBB81_11:
	s_load_b32 s0, s[22:23], 0x50
	s_delay_alu instid0(VALU_DEP_1)
	v_mad_u64_u32 v[3:4], null, v0, s7, v[1:2]
	v_mul_lo_u32 v12, v1, s7
	s_xor_b32 s10, vcc_lo, -1
	s_waitcnt lgkmcnt(0)
	s_bitcmp1_b32 s0, 8
	s_cselect_b32 s0, -1, 0
	s_cmp_lg_u64 s[2:3], 0
	s_cselect_b32 s9, -1, 0
	s_cmp_eq_u64 s[2:3], 0
	s_cbranch_scc1 .LBB81_13
; %bb.12:
	v_add_nc_u32_e32 v4, v12, v0
	s_delay_alu instid0(VALU_DEP_1) | instskip(NEXT) | instid1(VALU_DEP_1)
	v_cndmask_b32_e64 v4, v3, v4, s0
	v_add_nc_u32_e32 v4, s24, v4
	global_load_i8 v4, v4, s[2:3]
	s_waitcnt vmcnt(0)
	v_cvt_f32_i32_e32 v11, v4
.LBB81_13:
	v_cndmask_b32_e64 v15, 0, 1, s10
	s_and_not1_b32 vcc_lo, exec_lo, s10
	s_cbranch_vccnz .LBB81_15
; %bb.14:
	v_add_nc_u32_e32 v4, 1, v2
	s_xor_b32 s0, s0, -1
	s_cbranch_execz .LBB81_16
	s_branch .LBB81_17
.LBB81_15:
                                        ; implicit-def: $vgpr4
	s_xor_b32 s0, s0, -1
.LBB81_16:
	v_mul_lo_u32 v4, s6, v1
	s_delay_alu instid0(VALU_DEP_1)
	v_add3_u32 v4, v4, s6, v0
.LBB81_17:
	v_cndmask_b32_e64 v16, 0, 1, s0
	s_and_not1_b32 vcc_lo, exec_lo, s0
	s_cbranch_vccnz .LBB81_19
; %bb.18:
	v_add_nc_u32_e32 v5, 1, v3
	s_cbranch_execz .LBB81_20
	s_branch .LBB81_21
.LBB81_19:
                                        ; implicit-def: $vgpr5
.LBB81_20:
	v_add3_u32 v5, v12, s7, v0
.LBB81_21:
	v_cndmask_b32_e64 v17, 0, 1, s5
	v_dual_mov_b32 v14, 0 :: v_dual_mov_b32 v13, 0
	s_and_not1_b32 vcc_lo, exec_lo, s5
	s_cbranch_vccnz .LBB81_23
; %bb.22:
	v_add_nc_u32_e32 v4, s24, v4
	global_load_i8 v4, v4, s[14:15]
	s_waitcnt vmcnt(0)
	v_cvt_f32_i32_e32 v13, v4
.LBB81_23:
	v_cndmask_b32_e64 v18, 0, 1, s9
	s_and_not1_b32 vcc_lo, exec_lo, s9
	s_cbranch_vccnz .LBB81_25
; %bb.24:
	v_add_nc_u32_e32 v4, s24, v5
	global_load_i8 v4, v4, s[2:3]
	s_waitcnt vmcnt(0)
	v_cvt_f32_i32_e32 v14, v4
.LBB81_25:
	v_cmp_ne_u32_e32 vcc_lo, 1, v15
	s_cbranch_vccnz .LBB81_27
; %bb.26:
	v_add_nc_u32_e32 v4, 2, v2
	s_cbranch_execz .LBB81_28
	s_branch .LBB81_29
.LBB81_27:
                                        ; implicit-def: $vgpr4
.LBB81_28:
	v_add_nc_u32_e32 v19, 2, v1
	s_delay_alu instid0(VALU_DEP_1)
	v_mad_u64_u32 v[4:5], null, v19, s6, v[0:1]
.LBB81_29:
	v_cmp_ne_u32_e32 vcc_lo, 1, v16
	s_cbranch_vccnz .LBB81_31
; %bb.30:
	v_add_nc_u32_e32 v5, 2, v3
	s_cbranch_execz .LBB81_32
	s_branch .LBB81_33
.LBB81_31:
                                        ; implicit-def: $vgpr5
.LBB81_32:
	s_lshl_b32 s0, s7, 1
	s_delay_alu instid0(SALU_CYCLE_1)
	v_add3_u32 v5, v12, s0, v0
.LBB81_33:
	v_cmp_ne_u32_e32 vcc_lo, 1, v17
	v_dual_mov_b32 v20, 0 :: v_dual_mov_b32 v19, 0
	s_cbranch_vccnz .LBB81_35
; %bb.34:
	v_add_nc_u32_e32 v4, s24, v4
	global_load_i8 v4, v4, s[14:15]
	s_waitcnt vmcnt(0)
	v_cvt_f32_i32_e32 v19, v4
.LBB81_35:
	v_cmp_ne_u32_e32 vcc_lo, 1, v18
	s_cbranch_vccnz .LBB81_37
; %bb.36:
	v_add_nc_u32_e32 v4, s24, v5
	global_load_i8 v4, v4, s[2:3]
	s_waitcnt vmcnt(0)
	v_cvt_f32_i32_e32 v20, v4
.LBB81_37:
	v_cmp_ne_u32_e32 vcc_lo, 1, v15
	s_cbranch_vccnz .LBB81_39
; %bb.38:
	v_add_nc_u32_e32 v4, 3, v2
	s_cbranch_execz .LBB81_40
	s_branch .LBB81_41
.LBB81_39:
                                        ; implicit-def: $vgpr4
.LBB81_40:
	v_add_nc_u32_e32 v1, 3, v1
	s_delay_alu instid0(VALU_DEP_1)
	v_mad_u64_u32 v[4:5], null, v1, s6, v[0:1]
.LBB81_41:
	v_cmp_ne_u32_e32 vcc_lo, 1, v16
	s_cbranch_vccnz .LBB81_43
; %bb.42:
	v_add_nc_u32_e32 v2, 3, v3
	s_cbranch_execz .LBB81_44
	s_branch .LBB81_45
.LBB81_43:
                                        ; implicit-def: $vgpr2
.LBB81_44:
	s_mul_i32 s0, s7, 3
	s_delay_alu instid0(SALU_CYCLE_1)
	v_add3_u32 v2, v12, s0, v0
.LBB81_45:
	v_cmp_ne_u32_e32 vcc_lo, 1, v17
	v_mov_b32_e32 v3, 0
	v_mov_b32_e32 v1, 0
	s_cbranch_vccnz .LBB81_47
; %bb.46:
	v_add_nc_u32_e32 v1, s24, v4
	global_load_i8 v1, v1, s[14:15]
	s_waitcnt vmcnt(0)
	v_cvt_f32_i32_e32 v1, v1
.LBB81_47:
	v_cmp_ne_u32_e32 vcc_lo, 1, v18
	s_cbranch_vccnz .LBB81_49
; %bb.48:
	v_add_nc_u32_e32 v2, s24, v2
	global_load_i8 v2, v2, s[2:3]
	s_waitcnt vmcnt(0)
	v_cvt_f32_i32_e32 v3, v2
.LBB81_49:
	v_dual_mul_f32 v2, s16, v11 :: v_dual_mul_f32 v5, s16, v20
	s_delay_alu instid0(VALU_DEP_2) | instskip(SKIP_1) | instid1(VALU_DEP_3)
	v_dual_mul_f32 v4, s16, v14 :: v_dual_mul_f32 v3, s16, v3
	v_mul_lo_u32 v0, v0, s8
	v_dual_fmac_f32 v2, s11, v10 :: v_dual_fmac_f32 v5, s11, v19
	s_delay_alu instid0(VALU_DEP_3) | instskip(NEXT) | instid1(VALU_DEP_4)
	v_fmac_f32_e32 v4, s11, v13
	v_fmac_f32_e32 v3, s11, v1
	s_mov_b32 s0, exec_lo
	s_delay_alu instid0(VALU_DEP_3) | instskip(NEXT) | instid1(VALU_DEP_3)
	v_cvt_i32_f32_e32 v2, v2
	v_cvt_i32_f32_e32 v1, v4
	;; [unrolled: 1-line block ×4, first 2 shown]
	v_cmpx_ge_u32_e64 s4, v9
	s_xor_b32 s0, exec_lo, s0
; %bb.50:
	v_add_nc_u32_e32 v5, s24, v8
	s_delay_alu instid0(VALU_DEP_1) | instskip(NEXT) | instid1(VALU_DEP_1)
	v_sub_nc_u32_e32 v5, v5, v7
	v_add_nc_u32_e32 v0, v5, v0
	s_delay_alu instid0(VALU_DEP_1)
	v_add_nc_u32_e32 v5, 1, v0
	v_add_nc_u32_e32 v6, 2, v0
	;; [unrolled: 1-line block ×3, first 2 shown]
	s_clause 0x3
	global_store_b8 v0, v2, s[12:13]
	global_store_b8 v5, v1, s[12:13]
	;; [unrolled: 1-line block ×4, first 2 shown]
                                        ; implicit-def: $vgpr7
                                        ; implicit-def: $vgpr1
                                        ; implicit-def: $vgpr2
                                        ; implicit-def: $vgpr3
                                        ; implicit-def: $vgpr4
                                        ; implicit-def: $vgpr6
                                        ; implicit-def: $vgpr0
; %bb.51:
	s_and_not1_saveexec_b32 s0, s0
	s_cbranch_execz .LBB81_55
; %bb.52:
	v_cmp_gt_u32_e32 vcc_lo, 4, v7
	s_and_b32 exec_lo, exec_lo, vcc_lo
	s_cbranch_execz .LBB81_55
; %bb.53:
	v_lshl_or_b32 v5, s21, 6, v6
	s_lshl_b32 s0, s1, 6
	v_lshlrev_b16 v1, 8, v1
	v_and_b32_e32 v2, 0xff, v2
	v_lshlrev_b16 v3, 8, v3
	v_subrev_nc_u32_e32 v6, s0, v5
	v_and_b32_e32 v4, 0xff, v4
	s_delay_alu instid0(VALU_DEP_4) | instskip(NEXT) | instid1(VALU_DEP_3)
	v_or_b32_e32 v1, v2, v1
	v_add_nc_u32_e32 v7, 4, v6
	s_delay_alu instid0(VALU_DEP_3) | instskip(SKIP_1) | instid1(VALU_DEP_4)
	v_or_b32_e32 v2, v4, v3
	v_add3_u32 v4, s24, v0, v5
	v_and_b32_e32 v1, 0xffff, v1
	s_delay_alu instid0(VALU_DEP_4) | instskip(NEXT) | instid1(VALU_DEP_4)
	v_min_u32_e32 v3, s4, v7
	v_lshlrev_b32_e32 v2, 16, v2
	s_delay_alu instid0(VALU_DEP_2) | instskip(NEXT) | instid1(VALU_DEP_2)
	v_sub_nc_u32_e32 v3, v6, v3
	v_or_b32_e32 v0, v1, v2
	v_subrev_nc_u32_e32 v2, s0, v4
	s_mov_b32 s0, 0
	s_delay_alu instid0(VALU_DEP_3)
	v_add_nc_u32_e32 v1, 3, v3
.LBB81_54:                              ; =>This Inner Loop Header: Depth=1
	s_delay_alu instid0(VALU_DEP_1) | instskip(NEXT) | instid1(VALU_DEP_1)
	v_add_nc_u32_e32 v1, 1, v1
	v_lshlrev_b32_e32 v3, 3, v1
	v_cmp_lt_u32_e32 vcc_lo, 2, v1
	s_delay_alu instid0(VALU_DEP_2)
	v_lshrrev_b32_e32 v3, v3, v0
	s_or_b32 s0, vcc_lo, s0
	global_store_b8 v2, v3, s[12:13]
	v_add_nc_u32_e32 v2, 1, v2
	s_and_not1_b32 exec_lo, exec_lo, s0
	s_cbranch_execnz .LBB81_54
.LBB81_55:
	s_endpgm
	.section	.rodata,"a",@progbits
	.p2align	6, 0x0
	.amdhsa_kernel Transform_I8_S_000_16_16_VW_4
		.amdhsa_group_segment_fixed_size 0
		.amdhsa_private_segment_fixed_size 64
		.amdhsa_kernarg_size 344
		.amdhsa_user_sgpr_count 14
		.amdhsa_user_sgpr_dispatch_ptr 0
		.amdhsa_user_sgpr_queue_ptr 0
		.amdhsa_user_sgpr_kernarg_segment_ptr 1
		.amdhsa_user_sgpr_dispatch_id 0
		.amdhsa_user_sgpr_private_segment_size 0
		.amdhsa_wavefront_size32 1
		.amdhsa_uses_dynamic_stack 0
		.amdhsa_enable_private_segment 1
		.amdhsa_system_sgpr_workgroup_id_x 1
		.amdhsa_system_sgpr_workgroup_id_y 0
		.amdhsa_system_sgpr_workgroup_id_z 1
		.amdhsa_system_sgpr_workgroup_info 0
		.amdhsa_system_vgpr_workitem_id 0
		.amdhsa_next_free_vgpr 42
		.amdhsa_next_free_sgpr 34
		.amdhsa_reserve_vcc 1
		.amdhsa_float_round_mode_32 0
		.amdhsa_float_round_mode_16_64 0
		.amdhsa_float_denorm_mode_32 3
		.amdhsa_float_denorm_mode_16_64 3
		.amdhsa_dx10_clamp 1
		.amdhsa_ieee_mode 1
		.amdhsa_fp16_overflow 0
		.amdhsa_workgroup_processor_mode 1
		.amdhsa_memory_ordered 1
		.amdhsa_forward_progress 0
		.amdhsa_shared_vgpr_count 0
		.amdhsa_exception_fp_ieee_invalid_op 0
		.amdhsa_exception_fp_denorm_src 0
		.amdhsa_exception_fp_ieee_div_zero 0
		.amdhsa_exception_fp_ieee_overflow 0
		.amdhsa_exception_fp_ieee_underflow 0
		.amdhsa_exception_fp_ieee_inexact 0
		.amdhsa_exception_int_div_zero 0
	.end_amdhsa_kernel
	.text
.Lfunc_end81:
	.size	Transform_I8_S_000_16_16_VW_4, .Lfunc_end81-Transform_I8_S_000_16_16_VW_4
                                        ; -- End function
	.section	.AMDGPU.csdata,"",@progbits
; Kernel info:
; codeLenInByte = 1460
; NumSgprs: 36
; NumVgprs: 42
; ScratchSize: 64
; MemoryBound: 0
; FloatMode: 240
; IeeeMode: 1
; LDSByteSize: 0 bytes/workgroup (compile time only)
; SGPRBlocks: 4
; VGPRBlocks: 5
; NumSGPRsForWavesPerEU: 36
; NumVGPRsForWavesPerEU: 42
; Occupancy: 16
; WaveLimiterHint : 1
; COMPUTE_PGM_RSRC2:SCRATCH_EN: 1
; COMPUTE_PGM_RSRC2:USER_SGPR: 14
; COMPUTE_PGM_RSRC2:TRAP_HANDLER: 0
; COMPUTE_PGM_RSRC2:TGID_X_EN: 1
; COMPUTE_PGM_RSRC2:TGID_Y_EN: 0
; COMPUTE_PGM_RSRC2:TGID_Z_EN: 1
; COMPUTE_PGM_RSRC2:TIDIG_COMP_CNT: 0
	.text
	.protected	Transform_I32_S_111_16_16_VW_1 ; -- Begin function Transform_I32_S_111_16_16_VW_1
	.globl	Transform_I32_S_111_16_16_VW_1
	.p2align	8
	.type	Transform_I32_S_111_16_16_VW_1,@function
Transform_I32_S_111_16_16_VW_1:         ; @Transform_I32_S_111_16_16_VW_1
; %bb.0:
	s_mov_b64 s[22:23], s[0:1]
	s_load_b32 s0, s[0:1], 0x64
	v_mov_b32_e32 v41, v0
	s_mov_b32 s21, s15
	s_mov_b32 s24, s14
	;; [unrolled: 1-line block ×3, first 2 shown]
	s_waitcnt lgkmcnt(0)
	v_cmp_eq_u16_e64 s0, 0x100, s0
	s_delay_alu instid0(VALU_DEP_1)
	s_and_b32 vcc_lo, exec_lo, s0
	s_mov_b32 s0, -1
	s_cbranch_vccnz .LBB82_2
; %bb.1:
	s_add_u32 s8, s22, 0x58
	s_addc_u32 s9, s23, 0
	s_getpc_b64 s[0:1]
	s_add_u32 s0, s0, __PRETTY_FUNCTION__._ZN10amd_detail9transformIifLb1ELb1ELb1ELj16ELj16ELj1EEEvPT_PKS1_S4_T0_PKS5_S5_S7_jjjjjjbb@rel32@lo+4
	s_addc_u32 s1, s1, __PRETTY_FUNCTION__._ZN10amd_detail9transformIifLb1ELb1ELb1ELj16ELj16ELj1EEEvPT_PKS1_S4_T0_PKS5_S5_S7_jjjjjjbb@rel32@hi+12
	s_delay_alu instid0(SALU_CYCLE_1) | instskip(SKIP_3) | instid1(SALU_CYCLE_1)
	v_dual_mov_b32 v0, s0 :: v_dual_mov_b32 v1, s1
	s_getpc_b64 s[2:3]
	s_add_u32 s2, s2, __assert_fail@rel32@lo+4
	s_addc_u32 s3, s3, __assert_fail@rel32@hi+12
	s_swappc_b64 s[30:31], s[2:3]
	; divergent unreachable
	s_mov_b32 s0, 0
.LBB82_2:
	s_delay_alu instid0(SALU_CYCLE_1)
	s_and_not1_b32 vcc_lo, exec_lo, s0
	s_cbranch_vccnz .LBB82_14
; %bb.3:
	s_load_b256 s[0:7], s[22:23], 0x38
	s_waitcnt lgkmcnt(0)
	s_and_b32 s7, s0, 15
	s_lshr_b32 s8, s0, 4
	s_cmp_lg_u32 s7, 0
	s_cselect_b32 s7, -1, 0
	s_delay_alu instid0(SALU_CYCLE_1) | instskip(SKIP_4) | instid1(VALU_DEP_1)
	s_cmp_lg_u32 s7, 0
	s_addc_u32 s10, s8, 0
	s_load_b64 s[8:9], s[22:23], 0x20
	v_cvt_f32_u32_e32 v0, s10
	s_sub_i32 s11, 0, s10
	v_rcp_iflag_f32_e32 v0, v0
	s_waitcnt_depctr 0xfff
	v_mul_f32_e32 v0, 0x4f7ffffe, v0
	s_delay_alu instid0(VALU_DEP_1) | instskip(NEXT) | instid1(VALU_DEP_1)
	v_cvt_u32_f32_e32 v0, v0
	v_readfirstlane_b32 s7, v0
	s_delay_alu instid0(VALU_DEP_1) | instskip(NEXT) | instid1(SALU_CYCLE_1)
	s_mul_i32 s11, s11, s7
	s_mul_hi_u32 s11, s7, s11
	s_delay_alu instid0(SALU_CYCLE_1)
	s_add_i32 s7, s7, s11
	s_waitcnt lgkmcnt(0)
	s_cmp_eq_u64 s[8:9], 0
	s_mul_hi_u32 s11, s24, s7
	s_cbranch_scc1 .LBB82_6
; %bb.4:
	s_load_b32 s7, s[8:9], 0x0
	s_load_b64 s[8:9], s[22:23], 0x30
	s_waitcnt lgkmcnt(0)
	s_cmp_eq_u64 s[8:9], 0
	s_cbranch_scc1 .LBB82_7
.LBB82_5:
	s_load_b32 s12, s[8:9], 0x0
	s_branch .LBB82_8
.LBB82_6:
	s_clause 0x1
	s_load_b32 s7, s[22:23], 0x18
	s_load_b64 s[8:9], s[22:23], 0x30
	s_waitcnt lgkmcnt(0)
	s_cmp_eq_u64 s[8:9], 0
	s_cbranch_scc0 .LBB82_5
.LBB82_7:
	s_load_b32 s12, s[22:23], 0x28
.LBB82_8:
	s_mul_i32 s8, s11, s10
	s_add_i32 s9, s11, 1
	s_sub_i32 s8, s24, s8
	v_and_b32_e32 v0, 15, v41
	s_sub_i32 s13, s8, s10
	s_cmp_ge_u32 s8, s10
	v_lshrrev_b32_e32 v2, 4, v41
	s_cselect_b32 s9, s9, s11
	s_cselect_b32 s8, s13, s8
	s_add_i32 s11, s9, 1
	s_cmp_ge_u32 s8, s10
	s_cselect_b32 s8, s11, s9
	s_delay_alu instid0(SALU_CYCLE_1) | instskip(NEXT) | instid1(SALU_CYCLE_1)
	s_mul_i32 s9, s8, s10
	s_sub_i32 s9, s24, s9
	s_delay_alu instid0(SALU_CYCLE_1) | instskip(SKIP_1) | instid1(VALU_DEP_2)
	v_lshl_or_b32 v1, s9, 4, v0
	v_lshl_add_u32 v0, s8, 4, v2
	v_cmp_gt_u32_e32 vcc_lo, s0, v1
	s_delay_alu instid0(VALU_DEP_2) | instskip(NEXT) | instid1(VALU_DEP_1)
	v_cmp_gt_u32_e64 s0, s1, v0
	s_and_b32 s0, vcc_lo, s0
	s_delay_alu instid0(SALU_CYCLE_1)
	s_and_saveexec_b32 s1, s0
	s_cbranch_execz .LBB82_14
; %bb.9:
	s_clause 0x1
	s_load_b128 s[8:11], s[22:23], 0x0
	s_load_b64 s[0:1], s[22:23], 0x10
	v_dual_mov_b32 v3, 0 :: v_dual_mov_b32 v2, 0
	s_mul_i32 s21, s21, s5
	s_waitcnt lgkmcnt(0)
	s_cmp_eq_u64 s[10:11], 0
	s_cbranch_scc1 .LBB82_11
; %bb.10:
	s_bitcmp1_b32 s6, 0
	v_mov_b32_e32 v5, 0
	s_cselect_b32 vcc_lo, -1, 0
	v_cndmask_b32_e32 v2, v1, v0, vcc_lo
	v_cndmask_b32_e32 v4, v0, v1, vcc_lo
	s_delay_alu instid0(VALU_DEP_2) | instskip(NEXT) | instid1(VALU_DEP_1)
	v_mul_lo_u32 v2, v2, s2
	v_add3_u32 v4, v4, s21, v2
	s_delay_alu instid0(VALU_DEP_1) | instskip(NEXT) | instid1(VALU_DEP_1)
	v_lshlrev_b64 v[4:5], 2, v[4:5]
	v_add_co_u32 v4, vcc_lo, s10, v4
	s_delay_alu instid0(VALU_DEP_2)
	v_add_co_ci_u32_e32 v5, vcc_lo, s11, v5, vcc_lo
	global_load_b32 v2, v[4:5], off
	s_waitcnt vmcnt(0)
	v_cvt_f32_i32_e32 v2, v2
.LBB82_11:
	s_cmp_eq_u64 s[0:1], 0
	s_cbranch_scc1 .LBB82_13
; %bb.12:
	s_load_b32 s2, s[22:23], 0x50
	v_mov_b32_e32 v4, 0
	s_waitcnt lgkmcnt(0)
	s_bitcmp1_b32 s2, 8
	s_cselect_b32 vcc_lo, -1, 0
	v_cndmask_b32_e32 v3, v1, v0, vcc_lo
	v_cndmask_b32_e32 v5, v0, v1, vcc_lo
	s_delay_alu instid0(VALU_DEP_2) | instskip(NEXT) | instid1(VALU_DEP_1)
	v_mul_lo_u32 v3, v3, s3
	v_add3_u32 v3, v5, s21, v3
	s_delay_alu instid0(VALU_DEP_1) | instskip(NEXT) | instid1(VALU_DEP_1)
	v_lshlrev_b64 v[3:4], 2, v[3:4]
	v_add_co_u32 v3, vcc_lo, s0, v3
	s_delay_alu instid0(VALU_DEP_2)
	v_add_co_ci_u32_e32 v4, vcc_lo, s1, v4, vcc_lo
	global_load_b32 v3, v[3:4], off
	s_waitcnt vmcnt(0)
	v_cvt_f32_i32_e32 v3, v3
.LBB82_13:
	v_mul_lo_u32 v4, v1, s4
	v_mov_b32_e32 v1, 0
	s_delay_alu instid0(VALU_DEP_3) | instskip(NEXT) | instid1(VALU_DEP_1)
	v_mul_f32_e32 v3, s12, v3
	v_fmac_f32_e32 v3, s7, v2
	s_delay_alu instid0(VALU_DEP_4) | instskip(NEXT) | instid1(VALU_DEP_2)
	v_add3_u32 v0, v0, s21, v4
	v_cvt_i32_f32_e32 v2, v3
	s_delay_alu instid0(VALU_DEP_2) | instskip(NEXT) | instid1(VALU_DEP_1)
	v_lshlrev_b64 v[0:1], 2, v[0:1]
	v_add_co_u32 v0, vcc_lo, s8, v0
	s_delay_alu instid0(VALU_DEP_2)
	v_add_co_ci_u32_e32 v1, vcc_lo, s9, v1, vcc_lo
	global_store_b32 v[0:1], v2, off
.LBB82_14:
	s_endpgm
	.section	.rodata,"a",@progbits
	.p2align	6, 0x0
	.amdhsa_kernel Transform_I32_S_111_16_16_VW_1
		.amdhsa_group_segment_fixed_size 0
		.amdhsa_private_segment_fixed_size 64
		.amdhsa_kernarg_size 344
		.amdhsa_user_sgpr_count 14
		.amdhsa_user_sgpr_dispatch_ptr 0
		.amdhsa_user_sgpr_queue_ptr 0
		.amdhsa_user_sgpr_kernarg_segment_ptr 1
		.amdhsa_user_sgpr_dispatch_id 0
		.amdhsa_user_sgpr_private_segment_size 0
		.amdhsa_wavefront_size32 1
		.amdhsa_uses_dynamic_stack 0
		.amdhsa_enable_private_segment 1
		.amdhsa_system_sgpr_workgroup_id_x 1
		.amdhsa_system_sgpr_workgroup_id_y 0
		.amdhsa_system_sgpr_workgroup_id_z 1
		.amdhsa_system_sgpr_workgroup_info 0
		.amdhsa_system_vgpr_workitem_id 0
		.amdhsa_next_free_vgpr 42
		.amdhsa_next_free_sgpr 34
		.amdhsa_reserve_vcc 1
		.amdhsa_float_round_mode_32 0
		.amdhsa_float_round_mode_16_64 0
		.amdhsa_float_denorm_mode_32 3
		.amdhsa_float_denorm_mode_16_64 3
		.amdhsa_dx10_clamp 1
		.amdhsa_ieee_mode 1
		.amdhsa_fp16_overflow 0
		.amdhsa_workgroup_processor_mode 1
		.amdhsa_memory_ordered 1
		.amdhsa_forward_progress 0
		.amdhsa_shared_vgpr_count 0
		.amdhsa_exception_fp_ieee_invalid_op 0
		.amdhsa_exception_fp_denorm_src 0
		.amdhsa_exception_fp_ieee_div_zero 0
		.amdhsa_exception_fp_ieee_overflow 0
		.amdhsa_exception_fp_ieee_underflow 0
		.amdhsa_exception_fp_ieee_inexact 0
		.amdhsa_exception_int_div_zero 0
	.end_amdhsa_kernel
	.text
.Lfunc_end82:
	.size	Transform_I32_S_111_16_16_VW_1, .Lfunc_end82-Transform_I32_S_111_16_16_VW_1
                                        ; -- End function
	.section	.AMDGPU.csdata,"",@progbits
; Kernel info:
; codeLenInByte = 768
; NumSgprs: 36
; NumVgprs: 42
; ScratchSize: 64
; MemoryBound: 0
; FloatMode: 240
; IeeeMode: 1
; LDSByteSize: 0 bytes/workgroup (compile time only)
; SGPRBlocks: 4
; VGPRBlocks: 5
; NumSGPRsForWavesPerEU: 36
; NumVGPRsForWavesPerEU: 42
; Occupancy: 16
; WaveLimiterHint : 1
; COMPUTE_PGM_RSRC2:SCRATCH_EN: 1
; COMPUTE_PGM_RSRC2:USER_SGPR: 14
; COMPUTE_PGM_RSRC2:TRAP_HANDLER: 0
; COMPUTE_PGM_RSRC2:TGID_X_EN: 1
; COMPUTE_PGM_RSRC2:TGID_Y_EN: 0
; COMPUTE_PGM_RSRC2:TGID_Z_EN: 1
; COMPUTE_PGM_RSRC2:TIDIG_COMP_CNT: 0
	.text
	.protected	Transform_I32_S_111_16_16_VW_4 ; -- Begin function Transform_I32_S_111_16_16_VW_4
	.globl	Transform_I32_S_111_16_16_VW_4
	.p2align	8
	.type	Transform_I32_S_111_16_16_VW_4,@function
Transform_I32_S_111_16_16_VW_4:         ; @Transform_I32_S_111_16_16_VW_4
; %bb.0:
	s_mov_b64 s[22:23], s[0:1]
	s_load_b32 s0, s[0:1], 0x64
	v_mov_b32_e32 v41, v0
	s_mov_b32 s24, s15
	s_mov_b32 s21, s14
	s_mov_b32 s32, 0
	s_waitcnt lgkmcnt(0)
	v_cmp_eq_u16_e64 s0, 0x100, s0
	s_delay_alu instid0(VALU_DEP_1)
	s_and_b32 vcc_lo, exec_lo, s0
	s_mov_b32 s0, -1
	s_cbranch_vccnz .LBB83_2
; %bb.1:
	s_add_u32 s8, s22, 0x58
	s_addc_u32 s9, s23, 0
	s_getpc_b64 s[0:1]
	s_add_u32 s0, s0, __PRETTY_FUNCTION__._ZN10amd_detail9transformIifLb1ELb1ELb1ELj16ELj16ELj4EEEvPT_PKS1_S4_T0_PKS5_S5_S7_jjjjjjbb@rel32@lo+4
	s_addc_u32 s1, s1, __PRETTY_FUNCTION__._ZN10amd_detail9transformIifLb1ELb1ELb1ELj16ELj16ELj4EEEvPT_PKS1_S4_T0_PKS5_S5_S7_jjjjjjbb@rel32@hi+12
	s_delay_alu instid0(SALU_CYCLE_1) | instskip(SKIP_3) | instid1(SALU_CYCLE_1)
	v_dual_mov_b32 v0, s0 :: v_dual_mov_b32 v1, s1
	s_getpc_b64 s[2:3]
	s_add_u32 s2, s2, __assert_fail@rel32@lo+4
	s_addc_u32 s3, s3, __assert_fail@rel32@hi+12
	s_swappc_b64 s[30:31], s[2:3]
	; divergent unreachable
	s_mov_b32 s0, 0
.LBB83_2:
	s_delay_alu instid0(SALU_CYCLE_1)
	s_and_not1_b32 vcc_lo, exec_lo, s0
	s_cbranch_vccnz .LBB83_55
; %bb.3:
	s_load_b128 s[0:3], s[22:23], 0x38
	s_waitcnt lgkmcnt(0)
	s_and_b32 s4, s0, 15
	s_lshr_b32 s5, s0, 4
	s_cmp_lg_u32 s4, 0
	s_cselect_b32 s4, -1, 0
	s_delay_alu instid0(SALU_CYCLE_1) | instskip(SKIP_4) | instid1(VALU_DEP_1)
	s_cmp_lg_u32 s4, 0
	s_addc_u32 s6, s5, 0
	s_load_b64 s[4:5], s[22:23], 0x20
	v_cvt_f32_u32_e32 v0, s6
	s_sub_i32 s8, 0, s6
	v_rcp_iflag_f32_e32 v0, v0
	s_waitcnt_depctr 0xfff
	v_mul_f32_e32 v0, 0x4f7ffffe, v0
	s_delay_alu instid0(VALU_DEP_1) | instskip(NEXT) | instid1(VALU_DEP_1)
	v_cvt_u32_f32_e32 v0, v0
	v_readfirstlane_b32 s7, v0
	s_delay_alu instid0(VALU_DEP_1) | instskip(NEXT) | instid1(SALU_CYCLE_1)
	s_mul_i32 s8, s8, s7
	s_mul_hi_u32 s8, s7, s8
	s_delay_alu instid0(SALU_CYCLE_1)
	s_add_i32 s7, s7, s8
	s_waitcnt lgkmcnt(0)
	s_cmp_eq_u64 s[4:5], 0
	s_mul_hi_u32 s7, s21, s7
	s_cbranch_scc1 .LBB83_6
; %bb.4:
	s_load_b32 s15, s[4:5], 0x0
	s_load_b64 s[4:5], s[22:23], 0x30
	s_waitcnt lgkmcnt(0)
	s_cmp_eq_u64 s[4:5], 0
	s_cbranch_scc1 .LBB83_7
.LBB83_5:
	s_load_b32 s16, s[4:5], 0x0
	s_branch .LBB83_8
.LBB83_6:
	s_clause 0x1
	s_load_b32 s15, s[22:23], 0x18
	s_load_b64 s[4:5], s[22:23], 0x30
	s_waitcnt lgkmcnt(0)
	s_cmp_eq_u64 s[4:5], 0
	s_cbranch_scc0 .LBB83_5
.LBB83_7:
	s_load_b32 s16, s[22:23], 0x28
.LBB83_8:
	s_mul_i32 s4, s7, s6
	s_add_i32 s5, s7, 1
	s_sub_i32 s4, s21, s4
	v_and_b32_e32 v9, 15, v41
	s_sub_i32 s8, s4, s6
	s_cmp_ge_u32 s4, s6
	s_cselect_b32 s5, s5, s7
	s_cselect_b32 s4, s8, s4
	s_add_i32 s7, s5, 1
	s_cmp_ge_u32 s4, s6
	s_cselect_b32 s12, s7, s5
	s_delay_alu instid0(SALU_CYCLE_1) | instskip(NEXT) | instid1(SALU_CYCLE_1)
	s_mul_i32 s14, s12, s6
	s_sub_i32 s4, s21, s14
	s_delay_alu instid0(SALU_CYCLE_1) | instskip(NEXT) | instid1(VALU_DEP_1)
	v_lshl_or_b32 v0, s4, 4, v9
	v_cmp_gt_u32_e32 vcc_lo, s0, v0
	s_and_saveexec_b32 s0, vcc_lo
	s_cbranch_execz .LBB83_55
; %bb.9:
	v_lshrrev_b32_e32 v1, 2, v41
	s_clause 0x1
	s_load_b128 s[8:11], s[22:23], 0x48
	s_load_b128 s[4:7], s[22:23], 0x0
	s_waitcnt lgkmcnt(0)
	s_lshl_b32 s11, s12, 6
	s_load_b64 s[12:13], s[22:23], 0x10
	v_dual_mov_b32 v3, 0 :: v_dual_and_b32 v10, 0xfc, v1
	v_mov_b32_e32 v4, 0
	s_delay_alu instid0(VALU_DEP_2) | instskip(NEXT) | instid1(VALU_DEP_1)
	v_add_nc_u32_e32 v8, s11, v10
	v_add_nc_u32_e32 v11, 4, v8
	v_mad_u64_u32 v[1:2], null, v0, s2, v[8:9]
	s_bitcmp1_b32 s10, 0
	s_delay_alu instid0(VALU_DEP_2) | instskip(SKIP_4) | instid1(VALU_DEP_2)
	v_sub_nc_u32_e64 v12, v11, s1 clamp
	s_cselect_b32 vcc_lo, -1, 0
	s_cmp_lg_u64 s[6:7], 0
	s_mul_i32 s24, s24, s9
	s_cselect_b32 s10, -1, 0
	v_sub_nc_u32_e32 v7, v1, v12
	v_sub_nc_u32_e32 v5, v8, v12
	s_cmp_eq_u64 s[6:7], 0
	s_cbranch_scc1 .LBB83_11
; %bb.10:
	s_delay_alu instid0(VALU_DEP_1) | instskip(NEXT) | instid1(VALU_DEP_1)
	v_mad_u64_u32 v[1:2], null, v5, s2, v[0:1]
	v_dual_mov_b32 v2, 0 :: v_dual_cndmask_b32 v1, v7, v1
	s_delay_alu instid0(VALU_DEP_1) | instskip(NEXT) | instid1(VALU_DEP_1)
	v_add_nc_u32_e32 v1, s24, v1
	v_lshlrev_b64 v[1:2], 2, v[1:2]
	s_delay_alu instid0(VALU_DEP_1) | instskip(NEXT) | instid1(VALU_DEP_1)
	v_add_co_u32 v1, s0, s6, v1
	v_add_co_ci_u32_e64 v2, s0, s7, v2, s0
	global_load_b32 v1, v[1:2], off
	s_waitcnt vmcnt(0)
	v_cvt_f32_i32_e32 v3, v1
.LBB83_11:
	s_load_b32 s0, s[22:23], 0x50
	v_mad_u64_u32 v[1:2], null, v0, s3, v[8:9]
	v_mul_lo_u32 v6, v5, s3
	s_xor_b32 s17, vcc_lo, -1
	s_delay_alu instid0(VALU_DEP_2)
	v_sub_nc_u32_e32 v13, v1, v12
	s_waitcnt lgkmcnt(0)
	s_bitcmp1_b32 s0, 8
	s_cselect_b32 s0, -1, 0
	s_cmp_lg_u64 s[12:13], 0
	s_cselect_b32 s9, -1, 0
	s_cmp_eq_u64 s[12:13], 0
	s_cbranch_scc1 .LBB83_13
; %bb.12:
	v_dual_mov_b32 v2, 0 :: v_dual_add_nc_u32 v1, v6, v0
	s_delay_alu instid0(VALU_DEP_1) | instskip(NEXT) | instid1(VALU_DEP_1)
	v_cndmask_b32_e64 v1, v13, v1, s0
	v_add_nc_u32_e32 v1, s24, v1
	s_delay_alu instid0(VALU_DEP_1) | instskip(NEXT) | instid1(VALU_DEP_1)
	v_lshlrev_b64 v[1:2], 2, v[1:2]
	v_add_co_u32 v1, vcc_lo, s12, v1
	s_delay_alu instid0(VALU_DEP_2)
	v_add_co_ci_u32_e32 v2, vcc_lo, s13, v2, vcc_lo
	global_load_b32 v1, v[1:2], off
	s_waitcnt vmcnt(0)
	v_cvt_f32_i32_e32 v4, v1
.LBB83_13:
	v_cndmask_b32_e64 v16, 0, 1, s17
	s_and_not1_b32 vcc_lo, exec_lo, s17
	s_cbranch_vccnz .LBB83_15
; %bb.14:
	v_add_nc_u32_e32 v1, 1, v7
	s_xor_b32 s0, s0, -1
	s_cbranch_execz .LBB83_16
	s_branch .LBB83_17
.LBB83_15:
                                        ; implicit-def: $vgpr1
	s_xor_b32 s0, s0, -1
.LBB83_16:
	v_mul_lo_u32 v1, s2, v5
	s_delay_alu instid0(VALU_DEP_1)
	v_add3_u32 v1, v1, s2, v0
.LBB83_17:
	v_cndmask_b32_e64 v17, 0, 1, s0
	s_and_not1_b32 vcc_lo, exec_lo, s0
	s_cbranch_vccnz .LBB83_19
; %bb.18:
	v_add_nc_u32_e32 v2, 1, v13
	s_cbranch_execz .LBB83_20
	s_branch .LBB83_21
.LBB83_19:
                                        ; implicit-def: $vgpr2
.LBB83_20:
	v_add3_u32 v2, v6, s3, v0
.LBB83_21:
	v_cndmask_b32_e64 v18, 0, 1, s10
	v_dual_mov_b32 v15, 0 :: v_dual_mov_b32 v14, 0
	s_and_not1_b32 vcc_lo, exec_lo, s10
	s_cbranch_vccnz .LBB83_23
; %bb.22:
	v_dual_mov_b32 v20, 0 :: v_dual_add_nc_u32 v19, s24, v1
	s_delay_alu instid0(VALU_DEP_1) | instskip(NEXT) | instid1(VALU_DEP_1)
	v_lshlrev_b64 v[19:20], 2, v[19:20]
	v_add_co_u32 v19, vcc_lo, s6, v19
	s_delay_alu instid0(VALU_DEP_2)
	v_add_co_ci_u32_e32 v20, vcc_lo, s7, v20, vcc_lo
	global_load_b32 v1, v[19:20], off
	s_waitcnt vmcnt(0)
	v_cvt_f32_i32_e32 v14, v1
.LBB83_23:
	v_cndmask_b32_e64 v19, 0, 1, s9
	s_and_not1_b32 vcc_lo, exec_lo, s9
	s_cbranch_vccnz .LBB83_25
; %bb.24:
	v_dual_mov_b32 v2, 0 :: v_dual_add_nc_u32 v1, s24, v2
	s_delay_alu instid0(VALU_DEP_1) | instskip(NEXT) | instid1(VALU_DEP_1)
	v_lshlrev_b64 v[1:2], 2, v[1:2]
	v_add_co_u32 v1, vcc_lo, s12, v1
	s_delay_alu instid0(VALU_DEP_2)
	v_add_co_ci_u32_e32 v2, vcc_lo, s13, v2, vcc_lo
	global_load_b32 v1, v[1:2], off
	s_waitcnt vmcnt(0)
	v_cvt_f32_i32_e32 v15, v1
.LBB83_25:
	v_cmp_ne_u32_e32 vcc_lo, 1, v16
	s_cbranch_vccnz .LBB83_27
; %bb.26:
	v_add_nc_u32_e32 v1, 2, v7
	s_cbranch_execz .LBB83_28
	s_branch .LBB83_29
.LBB83_27:
                                        ; implicit-def: $vgpr1
.LBB83_28:
	v_add_nc_u32_e32 v20, 2, v5
	s_delay_alu instid0(VALU_DEP_1)
	v_mad_u64_u32 v[1:2], null, v20, s2, v[0:1]
.LBB83_29:
	v_cmp_ne_u32_e32 vcc_lo, 1, v17
	s_cbranch_vccnz .LBB83_31
; %bb.30:
	v_add_nc_u32_e32 v2, 2, v13
	s_cbranch_execz .LBB83_32
	s_branch .LBB83_33
.LBB83_31:
                                        ; implicit-def: $vgpr2
.LBB83_32:
	s_lshl_b32 s0, s3, 1
	s_delay_alu instid0(SALU_CYCLE_1)
	v_add3_u32 v2, v6, s0, v0
.LBB83_33:
	v_cmp_ne_u32_e32 vcc_lo, 1, v18
	v_dual_mov_b32 v21, 0 :: v_dual_mov_b32 v20, 0
	s_cbranch_vccnz .LBB83_35
; %bb.34:
	v_dual_mov_b32 v23, 0 :: v_dual_add_nc_u32 v22, s24, v1
	s_delay_alu instid0(VALU_DEP_1) | instskip(NEXT) | instid1(VALU_DEP_1)
	v_lshlrev_b64 v[22:23], 2, v[22:23]
	v_add_co_u32 v22, vcc_lo, s6, v22
	s_delay_alu instid0(VALU_DEP_2)
	v_add_co_ci_u32_e32 v23, vcc_lo, s7, v23, vcc_lo
	global_load_b32 v1, v[22:23], off
	s_waitcnt vmcnt(0)
	v_cvt_f32_i32_e32 v20, v1
.LBB83_35:
	v_cmp_ne_u32_e32 vcc_lo, 1, v19
	s_cbranch_vccnz .LBB83_37
; %bb.36:
	v_dual_mov_b32 v2, 0 :: v_dual_add_nc_u32 v1, s24, v2
	s_delay_alu instid0(VALU_DEP_1) | instskip(NEXT) | instid1(VALU_DEP_1)
	v_lshlrev_b64 v[1:2], 2, v[1:2]
	v_add_co_u32 v1, vcc_lo, s12, v1
	s_delay_alu instid0(VALU_DEP_2)
	v_add_co_ci_u32_e32 v2, vcc_lo, s13, v2, vcc_lo
	global_load_b32 v1, v[1:2], off
	s_waitcnt vmcnt(0)
	v_cvt_f32_i32_e32 v21, v1
.LBB83_37:
	v_cmp_ne_u32_e32 vcc_lo, 1, v16
	s_cbranch_vccnz .LBB83_39
; %bb.38:
	v_add_nc_u32_e32 v1, 3, v7
	s_cbranch_execz .LBB83_40
	s_branch .LBB83_41
.LBB83_39:
                                        ; implicit-def: $vgpr1
.LBB83_40:
	v_add_nc_u32_e32 v5, 3, v5
	s_delay_alu instid0(VALU_DEP_1)
	v_mad_u64_u32 v[1:2], null, v5, s2, v[0:1]
.LBB83_41:
	v_cmp_ne_u32_e32 vcc_lo, 1, v17
	s_cbranch_vccnz .LBB83_43
; %bb.42:
	v_add_nc_u32_e32 v2, 3, v13
	s_cbranch_execz .LBB83_44
	s_branch .LBB83_45
.LBB83_43:
                                        ; implicit-def: $vgpr2
.LBB83_44:
	s_mul_i32 s0, s3, 3
	s_delay_alu instid0(SALU_CYCLE_1)
	v_add3_u32 v2, v6, s0, v0
.LBB83_45:
	v_cmp_ne_u32_e32 vcc_lo, 1, v18
	v_dual_mov_b32 v6, 0 :: v_dual_mov_b32 v5, 0
	s_cbranch_vccnz .LBB83_47
; %bb.46:
	v_dual_mov_b32 v17, 0 :: v_dual_add_nc_u32 v16, s24, v1
	s_delay_alu instid0(VALU_DEP_1) | instskip(NEXT) | instid1(VALU_DEP_1)
	v_lshlrev_b64 v[16:17], 2, v[16:17]
	v_add_co_u32 v16, vcc_lo, s6, v16
	s_delay_alu instid0(VALU_DEP_2)
	v_add_co_ci_u32_e32 v17, vcc_lo, s7, v17, vcc_lo
	global_load_b32 v1, v[16:17], off
	s_waitcnt vmcnt(0)
	v_cvt_f32_i32_e32 v5, v1
.LBB83_47:
	v_cmp_ne_u32_e32 vcc_lo, 1, v19
	s_cbranch_vccnz .LBB83_49
; %bb.48:
	v_dual_mov_b32 v2, 0 :: v_dual_add_nc_u32 v1, s24, v2
	s_delay_alu instid0(VALU_DEP_1) | instskip(NEXT) | instid1(VALU_DEP_1)
	v_lshlrev_b64 v[1:2], 2, v[1:2]
	v_add_co_u32 v1, vcc_lo, s12, v1
	s_delay_alu instid0(VALU_DEP_2)
	v_add_co_ci_u32_e32 v2, vcc_lo, s13, v2, vcc_lo
	global_load_b32 v1, v[1:2], off
	s_waitcnt vmcnt(0)
	v_cvt_f32_i32_e32 v6, v1
.LBB83_49:
	v_dual_mul_f32 v1, s16, v4 :: v_dual_mul_f32 v2, s16, v15
	s_delay_alu instid0(VALU_DEP_2) | instskip(SKIP_1) | instid1(VALU_DEP_2)
	v_dual_mul_f32 v4, s16, v21 :: v_dual_mul_f32 v7, s16, v6
	s_mov_b32 s0, exec_lo
	v_dual_fmac_f32 v1, s15, v3 :: v_dual_fmac_f32 v2, s15, v14
	s_delay_alu instid0(VALU_DEP_2) | instskip(NEXT) | instid1(VALU_DEP_2)
	v_dual_fmac_f32 v4, s15, v20 :: v_dual_fmac_f32 v7, s15, v5
	v_cvt_i32_f32_e32 v13, v1
	s_delay_alu instid0(VALU_DEP_3) | instskip(NEXT) | instid1(VALU_DEP_3)
	v_cvt_i32_f32_e32 v1, v2
	v_cvt_i32_f32_e32 v6, v4
	s_delay_alu instid0(VALU_DEP_4)
	v_cvt_i32_f32_e32 v5, v7
	v_cmpx_ge_u32_e64 s1, v11
	s_xor_b32 s0, exec_lo, s0
	s_cbranch_execz .LBB83_51
; %bb.50:
	v_mul_lo_u32 v0, v0, s8
	s_delay_alu instid0(VALU_DEP_1) | instskip(NEXT) | instid1(VALU_DEP_1)
	v_add3_u32 v0, v8, s24, v0
	v_sub_nc_u32_e32 v2, v0, v12
	v_mov_b32_e32 v3, 0
	s_delay_alu instid0(VALU_DEP_2) | instskip(NEXT) | instid1(VALU_DEP_2)
	v_add_nc_u32_e32 v7, 1, v2
	v_lshlrev_b64 v[11:12], 2, v[2:3]
	v_add_nc_u32_e32 v9, 2, v2
	v_add_nc_u32_e32 v2, 3, v2
	v_mov_b32_e32 v8, v3
	v_mov_b32_e32 v10, v3
	v_add_co_u32 v11, vcc_lo, s4, v11
	s_delay_alu instid0(VALU_DEP_3) | instskip(NEXT) | instid1(VALU_DEP_3)
	v_lshlrev_b64 v[7:8], 2, v[7:8]
	v_lshlrev_b64 v[9:10], 2, v[9:10]
	v_add_co_ci_u32_e32 v12, vcc_lo, s5, v12, vcc_lo
	v_lshlrev_b64 v[2:3], 2, v[2:3]
	s_delay_alu instid0(VALU_DEP_4)
	v_add_co_u32 v7, vcc_lo, s4, v7
	v_add_co_ci_u32_e32 v8, vcc_lo, s5, v8, vcc_lo
	v_add_co_u32 v9, vcc_lo, s4, v9
	v_add_co_ci_u32_e32 v10, vcc_lo, s5, v10, vcc_lo
	;; [unrolled: 2-line block ×3, first 2 shown]
	s_clause 0x3
	global_store_b32 v[11:12], v13, off
	global_store_b32 v[7:8], v1, off
	;; [unrolled: 1-line block ×4, first 2 shown]
                                        ; implicit-def: $vgpr0_vgpr1_vgpr2_vgpr3
                                        ; implicit-def: $vgpr4_vgpr5_vgpr6_vgpr7
                                        ; implicit-def: $vgpr9
                                        ; implicit-def: $vgpr10
                                        ; implicit-def: $vgpr8
                                        ; implicit-def: $vgpr11
                                        ; implicit-def: $vgpr12
                                        ; implicit-def: $vgpr13
                                        ; implicit-def: $vgpr2_vgpr3_vgpr4_vgpr5
.LBB83_51:
	s_and_not1_saveexec_b32 s0, s0
	s_cbranch_execz .LBB83_55
; %bb.52:
	v_cmp_gt_u32_e32 vcc_lo, 4, v12
	s_and_b32 exec_lo, exec_lo, vcc_lo
	s_cbranch_execz .LBB83_55
; %bb.53:
	v_lshl_or_b32 v0, s21, 4, v9
	s_lshl_b32 s0, s14, 4
	v_min_u32_e32 v2, s1, v11
	s_add_i32 s11, s11, s24
	s_mov_b32 s1, 0
	v_subrev_nc_u32_e32 v0, s0, v0
	s_delay_alu instid0(VALU_DEP_1) | instskip(SKIP_1) | instid1(VALU_DEP_1)
	v_mul_lo_u32 v3, s8, v0
	v_sub_nc_u32_e32 v0, v8, v2
	v_add_nc_u32_e32 v0, 3, v0
	s_delay_alu instid0(VALU_DEP_3)
	v_add3_u32 v2, s11, v3, v10
	v_mov_b32_e32 v3, 0
	.p2align	6
.LBB83_54:                              ; =>This Inner Loop Header: Depth=1
	s_delay_alu instid0(VALU_DEP_3) | instskip(NEXT) | instid1(VALU_DEP_2)
	v_add_nc_u32_e32 v0, 1, v0
	v_lshlrev_b64 v[7:8], 2, v[2:3]
	v_add_nc_u32_e32 v2, 1, v2
	s_delay_alu instid0(VALU_DEP_3) | instskip(SKIP_3) | instid1(VALU_DEP_2)
	v_cmp_eq_u32_e32 vcc_lo, 1, v0
	v_cmp_eq_u32_e64 s0, 2, v0
	v_cndmask_b32_e32 v4, v13, v1, vcc_lo
	v_cmp_lt_u32_e32 vcc_lo, 2, v0
	v_cndmask_b32_e64 v4, v4, v6, s0
	v_add_co_u32 v7, s0, s4, v7
	s_delay_alu instid0(VALU_DEP_1) | instskip(SKIP_2) | instid1(VALU_DEP_1)
	v_add_co_ci_u32_e64 v8, s0, s5, v8, s0
	v_cmp_eq_u32_e64 s0, 3, v0
	s_or_b32 s1, vcc_lo, s1
	v_cndmask_b32_e64 v4, v4, v5, s0
	global_store_b32 v[7:8], v4, off
	s_and_not1_b32 exec_lo, exec_lo, s1
	s_cbranch_execnz .LBB83_54
.LBB83_55:
	s_endpgm
	.section	.rodata,"a",@progbits
	.p2align	6, 0x0
	.amdhsa_kernel Transform_I32_S_111_16_16_VW_4
		.amdhsa_group_segment_fixed_size 0
		.amdhsa_private_segment_fixed_size 64
		.amdhsa_kernarg_size 344
		.amdhsa_user_sgpr_count 14
		.amdhsa_user_sgpr_dispatch_ptr 0
		.amdhsa_user_sgpr_queue_ptr 0
		.amdhsa_user_sgpr_kernarg_segment_ptr 1
		.amdhsa_user_sgpr_dispatch_id 0
		.amdhsa_user_sgpr_private_segment_size 0
		.amdhsa_wavefront_size32 1
		.amdhsa_uses_dynamic_stack 0
		.amdhsa_enable_private_segment 1
		.amdhsa_system_sgpr_workgroup_id_x 1
		.amdhsa_system_sgpr_workgroup_id_y 0
		.amdhsa_system_sgpr_workgroup_id_z 1
		.amdhsa_system_sgpr_workgroup_info 0
		.amdhsa_system_vgpr_workitem_id 0
		.amdhsa_next_free_vgpr 42
		.amdhsa_next_free_sgpr 34
		.amdhsa_reserve_vcc 1
		.amdhsa_float_round_mode_32 0
		.amdhsa_float_round_mode_16_64 0
		.amdhsa_float_denorm_mode_32 3
		.amdhsa_float_denorm_mode_16_64 3
		.amdhsa_dx10_clamp 1
		.amdhsa_ieee_mode 1
		.amdhsa_fp16_overflow 0
		.amdhsa_workgroup_processor_mode 1
		.amdhsa_memory_ordered 1
		.amdhsa_forward_progress 0
		.amdhsa_shared_vgpr_count 0
		.amdhsa_exception_fp_ieee_invalid_op 0
		.amdhsa_exception_fp_denorm_src 0
		.amdhsa_exception_fp_ieee_div_zero 0
		.amdhsa_exception_fp_ieee_overflow 0
		.amdhsa_exception_fp_ieee_underflow 0
		.amdhsa_exception_fp_ieee_inexact 0
		.amdhsa_exception_int_div_zero 0
	.end_amdhsa_kernel
	.text
.Lfunc_end83:
	.size	Transform_I32_S_111_16_16_VW_4, .Lfunc_end83-Transform_I32_S_111_16_16_VW_4
                                        ; -- End function
	.section	.AMDGPU.csdata,"",@progbits
; Kernel info:
; codeLenInByte = 1844
; NumSgprs: 36
; NumVgprs: 42
; ScratchSize: 64
; MemoryBound: 0
; FloatMode: 240
; IeeeMode: 1
; LDSByteSize: 0 bytes/workgroup (compile time only)
; SGPRBlocks: 4
; VGPRBlocks: 5
; NumSGPRsForWavesPerEU: 36
; NumVGPRsForWavesPerEU: 42
; Occupancy: 16
; WaveLimiterHint : 1
; COMPUTE_PGM_RSRC2:SCRATCH_EN: 1
; COMPUTE_PGM_RSRC2:USER_SGPR: 14
; COMPUTE_PGM_RSRC2:TRAP_HANDLER: 0
; COMPUTE_PGM_RSRC2:TGID_X_EN: 1
; COMPUTE_PGM_RSRC2:TGID_Y_EN: 0
; COMPUTE_PGM_RSRC2:TGID_Z_EN: 1
; COMPUTE_PGM_RSRC2:TIDIG_COMP_CNT: 0
	.text
	.protected	Transform_I32_S_110_16_16_VW_1 ; -- Begin function Transform_I32_S_110_16_16_VW_1
	.globl	Transform_I32_S_110_16_16_VW_1
	.p2align	8
	.type	Transform_I32_S_110_16_16_VW_1,@function
Transform_I32_S_110_16_16_VW_1:         ; @Transform_I32_S_110_16_16_VW_1
; %bb.0:
	s_mov_b64 s[22:23], s[0:1]
	s_load_b32 s0, s[0:1], 0x64
	v_mov_b32_e32 v41, v0
	s_mov_b32 s21, s15
	s_mov_b32 s24, s14
	;; [unrolled: 1-line block ×3, first 2 shown]
	s_waitcnt lgkmcnt(0)
	v_cmp_eq_u16_e64 s0, 0x100, s0
	s_delay_alu instid0(VALU_DEP_1)
	s_and_b32 vcc_lo, exec_lo, s0
	s_mov_b32 s0, -1
	s_cbranch_vccnz .LBB84_2
; %bb.1:
	s_add_u32 s8, s22, 0x58
	s_addc_u32 s9, s23, 0
	s_getpc_b64 s[0:1]
	s_add_u32 s0, s0, __PRETTY_FUNCTION__._ZN10amd_detail9transformIifLb1ELb1ELb0ELj16ELj16ELj1EEEvPT_PKS1_S4_T0_PKS5_S5_S7_jjjjjjbb@rel32@lo+4
	s_addc_u32 s1, s1, __PRETTY_FUNCTION__._ZN10amd_detail9transformIifLb1ELb1ELb0ELj16ELj16ELj1EEEvPT_PKS1_S4_T0_PKS5_S5_S7_jjjjjjbb@rel32@hi+12
	s_delay_alu instid0(SALU_CYCLE_1) | instskip(SKIP_3) | instid1(SALU_CYCLE_1)
	v_dual_mov_b32 v0, s0 :: v_dual_mov_b32 v1, s1
	s_getpc_b64 s[2:3]
	s_add_u32 s2, s2, __assert_fail@rel32@lo+4
	s_addc_u32 s3, s3, __assert_fail@rel32@hi+12
	s_swappc_b64 s[30:31], s[2:3]
	; divergent unreachable
	s_mov_b32 s0, 0
.LBB84_2:
	s_delay_alu instid0(SALU_CYCLE_1)
	s_and_not1_b32 vcc_lo, exec_lo, s0
	s_cbranch_vccnz .LBB84_14
; %bb.3:
	s_load_b256 s[0:7], s[22:23], 0x38
	s_waitcnt lgkmcnt(0)
	s_and_b32 s7, s0, 15
	s_lshr_b32 s8, s0, 4
	s_cmp_lg_u32 s7, 0
	s_cselect_b32 s7, -1, 0
	s_delay_alu instid0(SALU_CYCLE_1) | instskip(SKIP_4) | instid1(VALU_DEP_1)
	s_cmp_lg_u32 s7, 0
	s_addc_u32 s10, s8, 0
	s_load_b64 s[8:9], s[22:23], 0x20
	v_cvt_f32_u32_e32 v0, s10
	s_sub_i32 s11, 0, s10
	v_rcp_iflag_f32_e32 v0, v0
	s_waitcnt_depctr 0xfff
	v_mul_f32_e32 v0, 0x4f7ffffe, v0
	s_delay_alu instid0(VALU_DEP_1) | instskip(NEXT) | instid1(VALU_DEP_1)
	v_cvt_u32_f32_e32 v0, v0
	v_readfirstlane_b32 s7, v0
	s_delay_alu instid0(VALU_DEP_1) | instskip(NEXT) | instid1(SALU_CYCLE_1)
	s_mul_i32 s11, s11, s7
	s_mul_hi_u32 s11, s7, s11
	s_delay_alu instid0(SALU_CYCLE_1)
	s_add_i32 s7, s7, s11
	s_waitcnt lgkmcnt(0)
	s_cmp_eq_u64 s[8:9], 0
	s_mul_hi_u32 s11, s24, s7
	s_cbranch_scc1 .LBB84_6
; %bb.4:
	s_load_b32 s7, s[8:9], 0x0
	s_load_b64 s[8:9], s[22:23], 0x30
	s_waitcnt lgkmcnt(0)
	s_cmp_eq_u64 s[8:9], 0
	s_cbranch_scc1 .LBB84_7
.LBB84_5:
	s_load_b32 s12, s[8:9], 0x0
	s_branch .LBB84_8
.LBB84_6:
	s_clause 0x1
	s_load_b32 s7, s[22:23], 0x18
	s_load_b64 s[8:9], s[22:23], 0x30
	s_waitcnt lgkmcnt(0)
	s_cmp_eq_u64 s[8:9], 0
	s_cbranch_scc0 .LBB84_5
.LBB84_7:
	s_load_b32 s12, s[22:23], 0x28
.LBB84_8:
	s_mul_i32 s8, s11, s10
	s_add_i32 s9, s11, 1
	s_sub_i32 s8, s24, s8
	v_and_b32_e32 v0, 15, v41
	s_sub_i32 s13, s8, s10
	s_cmp_ge_u32 s8, s10
	v_lshrrev_b32_e32 v1, 4, v41
	s_cselect_b32 s9, s9, s11
	s_cselect_b32 s8, s13, s8
	s_add_i32 s11, s9, 1
	s_cmp_ge_u32 s8, s10
	s_cselect_b32 s8, s11, s9
	s_delay_alu instid0(SALU_CYCLE_1) | instskip(SKIP_2) | instid1(SALU_CYCLE_1)
	s_mul_i32 s9, s8, s10
	v_lshl_add_u32 v1, s8, 4, v1
	s_sub_i32 s9, s24, s9
	v_lshl_or_b32 v0, s9, 4, v0
	s_delay_alu instid0(VALU_DEP_1) | instskip(NEXT) | instid1(VALU_DEP_3)
	v_cmp_gt_u32_e32 vcc_lo, s0, v0
	v_cmp_gt_u32_e64 s0, s1, v1
	s_delay_alu instid0(VALU_DEP_1) | instskip(NEXT) | instid1(SALU_CYCLE_1)
	s_and_b32 s0, vcc_lo, s0
	s_and_saveexec_b32 s1, s0
	s_cbranch_execz .LBB84_14
; %bb.9:
	s_clause 0x1
	s_load_b128 s[8:11], s[22:23], 0x0
	s_load_b64 s[0:1], s[22:23], 0x10
	v_dual_mov_b32 v3, 0 :: v_dual_mov_b32 v2, 0
	s_mul_i32 s21, s21, s5
	s_waitcnt lgkmcnt(0)
	s_cmp_eq_u64 s[10:11], 0
	s_cbranch_scc1 .LBB84_11
; %bb.10:
	s_bitcmp1_b32 s6, 0
	v_mov_b32_e32 v5, 0
	s_cselect_b32 vcc_lo, -1, 0
	v_cndmask_b32_e32 v2, v0, v1, vcc_lo
	v_cndmask_b32_e32 v4, v1, v0, vcc_lo
	s_delay_alu instid0(VALU_DEP_2) | instskip(NEXT) | instid1(VALU_DEP_1)
	v_mul_lo_u32 v2, v2, s2
	v_add3_u32 v4, v4, s21, v2
	s_delay_alu instid0(VALU_DEP_1) | instskip(NEXT) | instid1(VALU_DEP_1)
	v_lshlrev_b64 v[4:5], 2, v[4:5]
	v_add_co_u32 v4, vcc_lo, s10, v4
	s_delay_alu instid0(VALU_DEP_2)
	v_add_co_ci_u32_e32 v5, vcc_lo, s11, v5, vcc_lo
	global_load_b32 v2, v[4:5], off
	s_waitcnt vmcnt(0)
	v_cvt_f32_i32_e32 v2, v2
.LBB84_11:
	s_cmp_eq_u64 s[0:1], 0
	s_cbranch_scc1 .LBB84_13
; %bb.12:
	s_load_b32 s2, s[22:23], 0x50
	v_mov_b32_e32 v4, 0
	s_waitcnt lgkmcnt(0)
	s_bitcmp1_b32 s2, 8
	s_cselect_b32 vcc_lo, -1, 0
	v_cndmask_b32_e32 v3, v0, v1, vcc_lo
	v_cndmask_b32_e32 v5, v1, v0, vcc_lo
	s_delay_alu instid0(VALU_DEP_2) | instskip(NEXT) | instid1(VALU_DEP_1)
	v_mul_lo_u32 v3, v3, s3
	v_add3_u32 v3, v5, s21, v3
	s_delay_alu instid0(VALU_DEP_1) | instskip(NEXT) | instid1(VALU_DEP_1)
	v_lshlrev_b64 v[3:4], 2, v[3:4]
	v_add_co_u32 v3, vcc_lo, s0, v3
	s_delay_alu instid0(VALU_DEP_2)
	v_add_co_ci_u32_e32 v4, vcc_lo, s1, v4, vcc_lo
	global_load_b32 v3, v[3:4], off
	s_waitcnt vmcnt(0)
	v_cvt_f32_i32_e32 v3, v3
.LBB84_13:
	v_mul_lo_u32 v4, v1, s4
	v_mov_b32_e32 v1, 0
	s_delay_alu instid0(VALU_DEP_3) | instskip(NEXT) | instid1(VALU_DEP_1)
	v_mul_f32_e32 v3, s12, v3
	v_fmac_f32_e32 v3, s7, v2
	s_delay_alu instid0(VALU_DEP_4) | instskip(NEXT) | instid1(VALU_DEP_2)
	v_add3_u32 v0, v0, s21, v4
	v_cvt_i32_f32_e32 v2, v3
	s_delay_alu instid0(VALU_DEP_2) | instskip(NEXT) | instid1(VALU_DEP_1)
	v_lshlrev_b64 v[0:1], 2, v[0:1]
	v_add_co_u32 v0, vcc_lo, s8, v0
	s_delay_alu instid0(VALU_DEP_2)
	v_add_co_ci_u32_e32 v1, vcc_lo, s9, v1, vcc_lo
	global_store_b32 v[0:1], v2, off
.LBB84_14:
	s_endpgm
	.section	.rodata,"a",@progbits
	.p2align	6, 0x0
	.amdhsa_kernel Transform_I32_S_110_16_16_VW_1
		.amdhsa_group_segment_fixed_size 0
		.amdhsa_private_segment_fixed_size 64
		.amdhsa_kernarg_size 344
		.amdhsa_user_sgpr_count 14
		.amdhsa_user_sgpr_dispatch_ptr 0
		.amdhsa_user_sgpr_queue_ptr 0
		.amdhsa_user_sgpr_kernarg_segment_ptr 1
		.amdhsa_user_sgpr_dispatch_id 0
		.amdhsa_user_sgpr_private_segment_size 0
		.amdhsa_wavefront_size32 1
		.amdhsa_uses_dynamic_stack 0
		.amdhsa_enable_private_segment 1
		.amdhsa_system_sgpr_workgroup_id_x 1
		.amdhsa_system_sgpr_workgroup_id_y 0
		.amdhsa_system_sgpr_workgroup_id_z 1
		.amdhsa_system_sgpr_workgroup_info 0
		.amdhsa_system_vgpr_workitem_id 0
		.amdhsa_next_free_vgpr 42
		.amdhsa_next_free_sgpr 34
		.amdhsa_reserve_vcc 1
		.amdhsa_float_round_mode_32 0
		.amdhsa_float_round_mode_16_64 0
		.amdhsa_float_denorm_mode_32 3
		.amdhsa_float_denorm_mode_16_64 3
		.amdhsa_dx10_clamp 1
		.amdhsa_ieee_mode 1
		.amdhsa_fp16_overflow 0
		.amdhsa_workgroup_processor_mode 1
		.amdhsa_memory_ordered 1
		.amdhsa_forward_progress 0
		.amdhsa_shared_vgpr_count 0
		.amdhsa_exception_fp_ieee_invalid_op 0
		.amdhsa_exception_fp_denorm_src 0
		.amdhsa_exception_fp_ieee_div_zero 0
		.amdhsa_exception_fp_ieee_overflow 0
		.amdhsa_exception_fp_ieee_underflow 0
		.amdhsa_exception_fp_ieee_inexact 0
		.amdhsa_exception_int_div_zero 0
	.end_amdhsa_kernel
	.text
.Lfunc_end84:
	.size	Transform_I32_S_110_16_16_VW_1, .Lfunc_end84-Transform_I32_S_110_16_16_VW_1
                                        ; -- End function
	.section	.AMDGPU.csdata,"",@progbits
; Kernel info:
; codeLenInByte = 764
; NumSgprs: 36
; NumVgprs: 42
; ScratchSize: 64
; MemoryBound: 0
; FloatMode: 240
; IeeeMode: 1
; LDSByteSize: 0 bytes/workgroup (compile time only)
; SGPRBlocks: 4
; VGPRBlocks: 5
; NumSGPRsForWavesPerEU: 36
; NumVGPRsForWavesPerEU: 42
; Occupancy: 16
; WaveLimiterHint : 1
; COMPUTE_PGM_RSRC2:SCRATCH_EN: 1
; COMPUTE_PGM_RSRC2:USER_SGPR: 14
; COMPUTE_PGM_RSRC2:TRAP_HANDLER: 0
; COMPUTE_PGM_RSRC2:TGID_X_EN: 1
; COMPUTE_PGM_RSRC2:TGID_Y_EN: 0
; COMPUTE_PGM_RSRC2:TGID_Z_EN: 1
; COMPUTE_PGM_RSRC2:TIDIG_COMP_CNT: 0
	.text
	.protected	Transform_I32_S_110_16_16_VW_4 ; -- Begin function Transform_I32_S_110_16_16_VW_4
	.globl	Transform_I32_S_110_16_16_VW_4
	.p2align	8
	.type	Transform_I32_S_110_16_16_VW_4,@function
Transform_I32_S_110_16_16_VW_4:         ; @Transform_I32_S_110_16_16_VW_4
; %bb.0:
	s_mov_b64 s[22:23], s[0:1]
	s_load_b32 s0, s[0:1], 0x64
	v_mov_b32_e32 v41, v0
	s_mov_b32 s24, s15
	s_mov_b32 s21, s14
	;; [unrolled: 1-line block ×3, first 2 shown]
	s_waitcnt lgkmcnt(0)
	v_cmp_eq_u16_e64 s0, 0x100, s0
	s_delay_alu instid0(VALU_DEP_1)
	s_and_b32 vcc_lo, exec_lo, s0
	s_mov_b32 s0, -1
	s_cbranch_vccnz .LBB85_2
; %bb.1:
	s_add_u32 s8, s22, 0x58
	s_addc_u32 s9, s23, 0
	s_getpc_b64 s[0:1]
	s_add_u32 s0, s0, __PRETTY_FUNCTION__._ZN10amd_detail9transformIifLb1ELb1ELb0ELj16ELj16ELj4EEEvPT_PKS1_S4_T0_PKS5_S5_S7_jjjjjjbb@rel32@lo+4
	s_addc_u32 s1, s1, __PRETTY_FUNCTION__._ZN10amd_detail9transformIifLb1ELb1ELb0ELj16ELj16ELj4EEEvPT_PKS1_S4_T0_PKS5_S5_S7_jjjjjjbb@rel32@hi+12
	s_delay_alu instid0(SALU_CYCLE_1) | instskip(SKIP_3) | instid1(SALU_CYCLE_1)
	v_dual_mov_b32 v0, s0 :: v_dual_mov_b32 v1, s1
	s_getpc_b64 s[2:3]
	s_add_u32 s2, s2, __assert_fail@rel32@lo+4
	s_addc_u32 s3, s3, __assert_fail@rel32@hi+12
	s_swappc_b64 s[30:31], s[2:3]
	; divergent unreachable
	s_mov_b32 s0, 0
.LBB85_2:
	s_delay_alu instid0(SALU_CYCLE_1)
	s_and_not1_b32 vcc_lo, exec_lo, s0
	s_cbranch_vccnz .LBB85_55
; %bb.3:
	s_load_b256 s[4:11], s[22:23], 0x38
	s_waitcnt lgkmcnt(0)
	s_and_b32 s0, s4, 63
	s_lshr_b32 s1, s4, 6
	s_cmp_lg_u32 s0, 0
	s_cselect_b32 s0, -1, 0
	s_delay_alu instid0(SALU_CYCLE_1) | instskip(SKIP_4) | instid1(VALU_DEP_1)
	s_cmp_lg_u32 s0, 0
	s_addc_u32 s2, s1, 0
	s_load_b64 s[0:1], s[22:23], 0x20
	v_cvt_f32_u32_e32 v0, s2
	s_sub_i32 s11, 0, s2
	v_rcp_iflag_f32_e32 v0, v0
	s_waitcnt_depctr 0xfff
	v_mul_f32_e32 v0, 0x4f7ffffe, v0
	s_delay_alu instid0(VALU_DEP_1) | instskip(NEXT) | instid1(VALU_DEP_1)
	v_cvt_u32_f32_e32 v0, v0
	v_readfirstlane_b32 s3, v0
	s_delay_alu instid0(VALU_DEP_1) | instskip(NEXT) | instid1(SALU_CYCLE_1)
	s_mul_i32 s11, s11, s3
	s_mul_hi_u32 s11, s3, s11
	s_delay_alu instid0(SALU_CYCLE_1)
	s_add_i32 s3, s3, s11
	s_waitcnt lgkmcnt(0)
	s_cmp_eq_u64 s[0:1], 0
	s_mul_hi_u32 s3, s21, s3
	s_cbranch_scc1 .LBB85_6
; %bb.4:
	s_load_b32 s11, s[0:1], 0x0
	s_load_b64 s[0:1], s[22:23], 0x30
	s_waitcnt lgkmcnt(0)
	s_cmp_eq_u64 s[0:1], 0
	s_cbranch_scc1 .LBB85_7
.LBB85_5:
	s_load_b32 s16, s[0:1], 0x0
	s_branch .LBB85_8
.LBB85_6:
	s_clause 0x1
	s_load_b32 s11, s[22:23], 0x18
	s_load_b64 s[0:1], s[22:23], 0x30
	s_waitcnt lgkmcnt(0)
	s_cmp_eq_u64 s[0:1], 0
	s_cbranch_scc0 .LBB85_5
.LBB85_7:
	s_load_b32 s16, s[22:23], 0x28
.LBB85_8:
	s_mul_i32 s0, s3, s2
	s_add_i32 s1, s3, 1
	s_sub_i32 s0, s21, s0
	v_lshrrev_b32_e32 v0, 4, v41
	s_sub_i32 s12, s0, s2
	s_cmp_ge_u32 s0, s2
	s_cselect_b32 s1, s1, s3
	s_cselect_b32 s0, s12, s0
	s_add_i32 s3, s1, 1
	s_cmp_ge_u32 s0, s2
	s_mov_b32 s0, exec_lo
	s_cselect_b32 s1, s3, s1
	s_delay_alu instid0(SALU_CYCLE_1) | instskip(NEXT) | instid1(VALU_DEP_1)
	v_lshl_add_u32 v0, s1, 4, v0
	v_cmpx_gt_u32_e64 s5, v0
	s_cbranch_execz .LBB85_55
; %bb.9:
	v_dual_mov_b32 v12, 0 :: v_dual_lshlrev_b32 v1, 2, v41
	s_mul_i32 s1, s1, s2
	s_clause 0x1
	s_load_b128 s[12:15], s[22:23], 0x0
	s_load_b64 s[2:3], s[22:23], 0x10
	v_dual_mov_b32 v13, 0 :: v_dual_and_b32 v8, 60, v1
	s_sub_i32 s0, s21, s1
	s_bitcmp1_b32 s10, 0
	s_mul_i32 s24, s24, s9
	s_delay_alu instid0(VALU_DEP_1) | instskip(SKIP_1) | instid1(VALU_DEP_1)
	v_lshl_or_b32 v10, s0, 6, v8
	s_cselect_b32 vcc_lo, -1, 0
	v_add_nc_u32_e32 v11, 4, v10
	s_delay_alu instid0(VALU_DEP_1) | instskip(SKIP_3) | instid1(VALU_DEP_1)
	v_sub_nc_u32_e64 v9, v11, s4 clamp
	s_waitcnt lgkmcnt(0)
	s_cmp_lg_u64 s[14:15], 0
	s_cselect_b32 s5, -1, 0
	v_sub_nc_u32_e32 v4, v10, v9
	s_cmp_eq_u64 s[14:15], 0
	s_delay_alu instid0(VALU_DEP_1)
	v_mad_u64_u32 v[1:2], null, v0, s6, v[4:5]
	s_cbranch_scc1 .LBB85_11
; %bb.10:
	s_delay_alu instid0(VALU_DEP_1) | instskip(NEXT) | instid1(VALU_DEP_1)
	v_mad_u64_u32 v[2:3], null, v4, s6, v[0:1]
	v_dual_mov_b32 v3, 0 :: v_dual_cndmask_b32 v2, v2, v1
	s_delay_alu instid0(VALU_DEP_1) | instskip(NEXT) | instid1(VALU_DEP_1)
	v_add_nc_u32_e32 v2, s24, v2
	v_lshlrev_b64 v[2:3], 2, v[2:3]
	s_delay_alu instid0(VALU_DEP_1) | instskip(NEXT) | instid1(VALU_DEP_1)
	v_add_co_u32 v2, s0, s14, v2
	v_add_co_ci_u32_e64 v3, s0, s15, v3, s0
	global_load_b32 v2, v[2:3], off
	s_waitcnt vmcnt(0)
	v_cvt_f32_i32_e32 v12, v2
.LBB85_11:
	s_load_b32 s0, s[22:23], 0x50
	v_mad_u64_u32 v[2:3], null, v0, s7, v[4:5]
	s_xor_b32 s10, vcc_lo, -1
	s_waitcnt lgkmcnt(0)
	s_bitcmp1_b32 s0, 8
	s_cselect_b32 s0, -1, 0
	s_cmp_lg_u64 s[2:3], 0
	s_cselect_b32 s9, -1, 0
	s_cmp_eq_u64 s[2:3], 0
	s_cbranch_scc1 .LBB85_13
; %bb.12:
	v_mad_u64_u32 v[5:6], null, v4, s7, v[0:1]
	s_delay_alu instid0(VALU_DEP_1) | instskip(NEXT) | instid1(VALU_DEP_1)
	v_cndmask_b32_e64 v3, v5, v2, s0
	v_dual_mov_b32 v6, 0 :: v_dual_add_nc_u32 v5, s24, v3
	s_delay_alu instid0(VALU_DEP_1) | instskip(NEXT) | instid1(VALU_DEP_1)
	v_lshlrev_b64 v[5:6], 2, v[5:6]
	v_add_co_u32 v5, vcc_lo, s2, v5
	s_delay_alu instid0(VALU_DEP_2)
	v_add_co_ci_u32_e32 v6, vcc_lo, s3, v6, vcc_lo
	global_load_b32 v3, v[5:6], off
	s_waitcnt vmcnt(0)
	v_cvt_f32_i32_e32 v13, v3
.LBB85_13:
	v_cndmask_b32_e64 v3, 0, 1, s10
	s_and_not1_b32 vcc_lo, exec_lo, s10
	s_cbranch_vccnz .LBB85_15
; %bb.14:
	v_mul_lo_u32 v5, s6, v4
	s_delay_alu instid0(VALU_DEP_1)
	v_add3_u32 v5, v5, s6, v0
	s_xor_b32 s0, s0, -1
	s_cbranch_execz .LBB85_16
	s_branch .LBB85_17
.LBB85_15:
                                        ; implicit-def: $vgpr5
	s_xor_b32 s0, s0, -1
.LBB85_16:
	v_add_nc_u32_e32 v5, 1, v1
.LBB85_17:
	v_cndmask_b32_e64 v16, 0, 1, s0
	s_and_not1_b32 vcc_lo, exec_lo, s0
	s_cbranch_vccnz .LBB85_19
; %bb.18:
	v_mul_lo_u32 v6, s7, v4
	s_delay_alu instid0(VALU_DEP_1)
	v_add3_u32 v6, v6, s7, v0
	s_cbranch_execz .LBB85_20
	s_branch .LBB85_21
.LBB85_19:
                                        ; implicit-def: $vgpr6
.LBB85_20:
	v_add_nc_u32_e32 v6, 1, v2
.LBB85_21:
	v_cndmask_b32_e64 v17, 0, 1, s5
	v_dual_mov_b32 v15, 0 :: v_dual_mov_b32 v14, 0
	s_and_not1_b32 vcc_lo, exec_lo, s5
	s_cbranch_vccnz .LBB85_23
; %bb.22:
	v_dual_mov_b32 v19, 0 :: v_dual_add_nc_u32 v18, s24, v5
	s_delay_alu instid0(VALU_DEP_1) | instskip(NEXT) | instid1(VALU_DEP_1)
	v_lshlrev_b64 v[18:19], 2, v[18:19]
	v_add_co_u32 v18, vcc_lo, s14, v18
	s_delay_alu instid0(VALU_DEP_2)
	v_add_co_ci_u32_e32 v19, vcc_lo, s15, v19, vcc_lo
	global_load_b32 v5, v[18:19], off
	s_waitcnt vmcnt(0)
	v_cvt_f32_i32_e32 v14, v5
.LBB85_23:
	v_cndmask_b32_e64 v18, 0, 1, s9
	s_and_not1_b32 vcc_lo, exec_lo, s9
	s_cbranch_vccnz .LBB85_25
; %bb.24:
	v_dual_mov_b32 v6, 0 :: v_dual_add_nc_u32 v5, s24, v6
	s_delay_alu instid0(VALU_DEP_1) | instskip(NEXT) | instid1(VALU_DEP_1)
	v_lshlrev_b64 v[5:6], 2, v[5:6]
	v_add_co_u32 v5, vcc_lo, s2, v5
	s_delay_alu instid0(VALU_DEP_2)
	v_add_co_ci_u32_e32 v6, vcc_lo, s3, v6, vcc_lo
	global_load_b32 v5, v[5:6], off
	s_waitcnt vmcnt(0)
	v_cvt_f32_i32_e32 v15, v5
.LBB85_25:
	v_cmp_ne_u32_e32 vcc_lo, 1, v3
	v_add_nc_u32_e32 v19, 2, v4
	s_cbranch_vccnz .LBB85_27
; %bb.26:
	s_delay_alu instid0(VALU_DEP_1)
	v_mad_u64_u32 v[5:6], null, v19, s6, v[0:1]
	s_cbranch_execz .LBB85_28
	s_branch .LBB85_29
.LBB85_27:
                                        ; implicit-def: $vgpr5
.LBB85_28:
	v_add_nc_u32_e32 v5, 2, v1
.LBB85_29:
	v_cmp_ne_u32_e32 vcc_lo, 1, v16
	s_cbranch_vccnz .LBB85_31
; %bb.30:
	v_mad_u64_u32 v[6:7], null, v19, s7, v[0:1]
	s_cbranch_execz .LBB85_32
	s_branch .LBB85_33
.LBB85_31:
                                        ; implicit-def: $vgpr6
.LBB85_32:
	v_add_nc_u32_e32 v6, 2, v2
.LBB85_33:
	v_cmp_ne_u32_e32 vcc_lo, 1, v17
	v_mov_b32_e32 v19, 0
	v_mov_b32_e32 v7, 0
	s_cbranch_vccnz .LBB85_35
; %bb.34:
	v_dual_mov_b32 v21, 0 :: v_dual_add_nc_u32 v20, s24, v5
	s_delay_alu instid0(VALU_DEP_1) | instskip(NEXT) | instid1(VALU_DEP_1)
	v_lshlrev_b64 v[20:21], 2, v[20:21]
	v_add_co_u32 v20, vcc_lo, s14, v20
	s_delay_alu instid0(VALU_DEP_2)
	v_add_co_ci_u32_e32 v21, vcc_lo, s15, v21, vcc_lo
	global_load_b32 v5, v[20:21], off
	s_waitcnt vmcnt(0)
	v_cvt_f32_i32_e32 v7, v5
.LBB85_35:
	v_cmp_ne_u32_e32 vcc_lo, 1, v18
	s_cbranch_vccnz .LBB85_37
; %bb.36:
	v_dual_mov_b32 v6, 0 :: v_dual_add_nc_u32 v5, s24, v6
	s_delay_alu instid0(VALU_DEP_1) | instskip(NEXT) | instid1(VALU_DEP_1)
	v_lshlrev_b64 v[5:6], 2, v[5:6]
	v_add_co_u32 v5, vcc_lo, s2, v5
	s_delay_alu instid0(VALU_DEP_2)
	v_add_co_ci_u32_e32 v6, vcc_lo, s3, v6, vcc_lo
	global_load_b32 v5, v[5:6], off
	s_waitcnt vmcnt(0)
	v_cvt_f32_i32_e32 v19, v5
.LBB85_37:
	v_cmp_ne_u32_e32 vcc_lo, 1, v3
	v_add_nc_u32_e32 v6, 3, v4
	s_cbranch_vccnz .LBB85_39
; %bb.38:
	s_delay_alu instid0(VALU_DEP_1)
	v_mad_u64_u32 v[3:4], null, v6, s6, v[0:1]
	s_cbranch_execz .LBB85_40
	s_branch .LBB85_41
.LBB85_39:
                                        ; implicit-def: $vgpr3
.LBB85_40:
	v_add_nc_u32_e32 v3, 3, v1
.LBB85_41:
	v_cmp_ne_u32_e32 vcc_lo, 1, v16
	s_cbranch_vccnz .LBB85_43
; %bb.42:
	v_mad_u64_u32 v[4:5], null, v6, s7, v[0:1]
	s_cbranch_execz .LBB85_44
	s_branch .LBB85_45
.LBB85_43:
                                        ; implicit-def: $vgpr4
.LBB85_44:
	v_add_nc_u32_e32 v4, 3, v2
.LBB85_45:
	v_cmp_ne_u32_e32 vcc_lo, 1, v17
	v_dual_mov_b32 v2, 0 :: v_dual_mov_b32 v1, 0
	s_cbranch_vccnz .LBB85_47
; %bb.46:
	v_dual_mov_b32 v6, 0 :: v_dual_add_nc_u32 v5, s24, v3
	s_delay_alu instid0(VALU_DEP_1) | instskip(NEXT) | instid1(VALU_DEP_1)
	v_lshlrev_b64 v[5:6], 2, v[5:6]
	v_add_co_u32 v5, vcc_lo, s14, v5
	s_delay_alu instid0(VALU_DEP_2)
	v_add_co_ci_u32_e32 v6, vcc_lo, s15, v6, vcc_lo
	global_load_b32 v1, v[5:6], off
	s_waitcnt vmcnt(0)
	v_cvt_f32_i32_e32 v1, v1
.LBB85_47:
	v_cmp_ne_u32_e32 vcc_lo, 1, v18
	s_cbranch_vccnz .LBB85_49
; %bb.48:
	v_dual_mov_b32 v3, 0 :: v_dual_add_nc_u32 v2, s24, v4
	s_delay_alu instid0(VALU_DEP_1) | instskip(NEXT) | instid1(VALU_DEP_1)
	v_lshlrev_b64 v[2:3], 2, v[2:3]
	v_add_co_u32 v2, vcc_lo, s2, v2
	s_delay_alu instid0(VALU_DEP_2)
	v_add_co_ci_u32_e32 v3, vcc_lo, s3, v3, vcc_lo
	global_load_b32 v2, v[2:3], off
	s_waitcnt vmcnt(0)
	v_cvt_f32_i32_e32 v2, v2
.LBB85_49:
	v_dual_mul_f32 v3, s16, v13 :: v_dual_mul_f32 v4, s16, v15
	s_delay_alu instid0(VALU_DEP_2) | instskip(SKIP_1) | instid1(VALU_DEP_3)
	v_dual_mul_f32 v5, s16, v19 :: v_dual_mul_f32 v2, s16, v2
	v_mul_lo_u32 v13, v0, s8
	v_dual_fmac_f32 v3, s11, v12 :: v_dual_fmac_f32 v4, s11, v14
	s_delay_alu instid0(VALU_DEP_3) | instskip(SKIP_1) | instid1(VALU_DEP_2)
	v_dual_fmac_f32 v5, s11, v7 :: v_dual_fmac_f32 v2, s11, v1
	s_mov_b32 s0, exec_lo
	v_cvt_i32_f32_e32 v12, v3
	s_delay_alu instid0(VALU_DEP_3) | instskip(NEXT) | instid1(VALU_DEP_3)
	v_cvt_i32_f32_e32 v1, v4
	v_cvt_i32_f32_e32 v6, v5
	;; [unrolled: 1-line block ×3, first 2 shown]
	v_cmpx_ge_u32_e64 s4, v11
	s_xor_b32 s0, exec_lo, s0
	s_cbranch_execz .LBB85_51
; %bb.50:
	v_dual_mov_b32 v3, 0 :: v_dual_add_nc_u32 v0, s24, v10
	s_delay_alu instid0(VALU_DEP_1) | instskip(NEXT) | instid1(VALU_DEP_1)
	v_sub_nc_u32_e32 v0, v0, v9
	v_add_nc_u32_e32 v2, v0, v13
	s_delay_alu instid0(VALU_DEP_3) | instskip(NEXT) | instid1(VALU_DEP_2)
	v_mov_b32_e32 v8, v3
	v_dual_mov_b32 v10, v3 :: v_dual_add_nc_u32 v9, 2, v2
	v_add_nc_u32_e32 v7, 1, v2
	v_lshlrev_b64 v[13:14], 2, v[2:3]
	v_add_nc_u32_e32 v2, 3, v2
	s_delay_alu instid0(VALU_DEP_4) | instskip(NEXT) | instid1(VALU_DEP_4)
	v_lshlrev_b64 v[9:10], 2, v[9:10]
	v_lshlrev_b64 v[7:8], 2, v[7:8]
	s_delay_alu instid0(VALU_DEP_4) | instskip(SKIP_2) | instid1(VALU_DEP_4)
	v_add_co_u32 v13, vcc_lo, s12, v13
	v_add_co_ci_u32_e32 v14, vcc_lo, s13, v14, vcc_lo
	v_lshlrev_b64 v[2:3], 2, v[2:3]
	v_add_co_u32 v7, vcc_lo, s12, v7
	v_add_co_ci_u32_e32 v8, vcc_lo, s13, v8, vcc_lo
	v_add_co_u32 v9, vcc_lo, s12, v9
	v_add_co_ci_u32_e32 v10, vcc_lo, s13, v10, vcc_lo
	;; [unrolled: 2-line block ×3, first 2 shown]
	s_clause 0x3
	global_store_b32 v[13:14], v12, off
	global_store_b32 v[7:8], v1, off
	;; [unrolled: 1-line block ×4, first 2 shown]
                                        ; implicit-def: $vgpr0_vgpr1_vgpr2_vgpr3
                                        ; implicit-def: $vgpr4_vgpr5_vgpr6_vgpr7
                                        ; implicit-def: $vgpr9
                                        ; implicit-def: $vgpr12
                                        ; implicit-def: $vgpr8
                                        ; implicit-def: $vgpr13
                                        ; implicit-def: $vgpr2_vgpr3_vgpr4_vgpr5
.LBB85_51:
	s_and_not1_saveexec_b32 s0, s0
	s_cbranch_execz .LBB85_55
; %bb.52:
	v_cmp_gt_u32_e32 vcc_lo, 4, v9
	s_and_b32 exec_lo, exec_lo, vcc_lo
	s_cbranch_execz .LBB85_55
; %bb.53:
	v_lshl_or_b32 v0, s21, 6, v8
	s_lshl_b32 s0, s1, 6
	s_mov_b32 s1, 0
	s_delay_alu instid0(VALU_DEP_1) | instskip(SKIP_1) | instid1(VALU_DEP_2)
	v_subrev_nc_u32_e32 v2, s0, v0
	v_add3_u32 v0, s24, v13, v0
	v_add_nc_u32_e32 v3, 4, v2
	s_delay_alu instid0(VALU_DEP_1) | instskip(NEXT) | instid1(VALU_DEP_1)
	v_min_u32_e32 v3, s4, v3
	v_sub_nc_u32_e32 v3, v2, v3
	s_delay_alu instid0(VALU_DEP_4) | instskip(NEXT) | instid1(VALU_DEP_2)
	v_subrev_nc_u32_e32 v2, s0, v0
	v_dual_mov_b32 v3, 0 :: v_dual_add_nc_u32 v0, 3, v3
	.p2align	6
.LBB85_54:                              ; =>This Inner Loop Header: Depth=1
	s_delay_alu instid0(VALU_DEP_1) | instskip(NEXT) | instid1(VALU_DEP_2)
	v_add_nc_u32_e32 v0, 1, v0
	v_lshlrev_b64 v[7:8], 2, v[2:3]
	v_add_nc_u32_e32 v2, 1, v2
	s_delay_alu instid0(VALU_DEP_3) | instskip(SKIP_3) | instid1(VALU_DEP_2)
	v_cmp_eq_u32_e32 vcc_lo, 1, v0
	v_cmp_eq_u32_e64 s0, 2, v0
	v_cndmask_b32_e32 v4, v12, v1, vcc_lo
	v_cmp_lt_u32_e32 vcc_lo, 2, v0
	v_cndmask_b32_e64 v4, v4, v6, s0
	v_add_co_u32 v7, s0, s12, v7
	s_delay_alu instid0(VALU_DEP_1) | instskip(SKIP_2) | instid1(VALU_DEP_1)
	v_add_co_ci_u32_e64 v8, s0, s13, v8, s0
	v_cmp_eq_u32_e64 s0, 3, v0
	s_or_b32 s1, vcc_lo, s1
	v_cndmask_b32_e64 v4, v4, v5, s0
	global_store_b32 v[7:8], v4, off
	s_and_not1_b32 exec_lo, exec_lo, s1
	s_cbranch_execnz .LBB85_54
.LBB85_55:
	s_endpgm
	.section	.rodata,"a",@progbits
	.p2align	6, 0x0
	.amdhsa_kernel Transform_I32_S_110_16_16_VW_4
		.amdhsa_group_segment_fixed_size 0
		.amdhsa_private_segment_fixed_size 64
		.amdhsa_kernarg_size 344
		.amdhsa_user_sgpr_count 14
		.amdhsa_user_sgpr_dispatch_ptr 0
		.amdhsa_user_sgpr_queue_ptr 0
		.amdhsa_user_sgpr_kernarg_segment_ptr 1
		.amdhsa_user_sgpr_dispatch_id 0
		.amdhsa_user_sgpr_private_segment_size 0
		.amdhsa_wavefront_size32 1
		.amdhsa_uses_dynamic_stack 0
		.amdhsa_enable_private_segment 1
		.amdhsa_system_sgpr_workgroup_id_x 1
		.amdhsa_system_sgpr_workgroup_id_y 0
		.amdhsa_system_sgpr_workgroup_id_z 1
		.amdhsa_system_sgpr_workgroup_info 0
		.amdhsa_system_vgpr_workitem_id 0
		.amdhsa_next_free_vgpr 42
		.amdhsa_next_free_sgpr 34
		.amdhsa_reserve_vcc 1
		.amdhsa_float_round_mode_32 0
		.amdhsa_float_round_mode_16_64 0
		.amdhsa_float_denorm_mode_32 3
		.amdhsa_float_denorm_mode_16_64 3
		.amdhsa_dx10_clamp 1
		.amdhsa_ieee_mode 1
		.amdhsa_fp16_overflow 0
		.amdhsa_workgroup_processor_mode 1
		.amdhsa_memory_ordered 1
		.amdhsa_forward_progress 0
		.amdhsa_shared_vgpr_count 0
		.amdhsa_exception_fp_ieee_invalid_op 0
		.amdhsa_exception_fp_denorm_src 0
		.amdhsa_exception_fp_ieee_div_zero 0
		.amdhsa_exception_fp_ieee_overflow 0
		.amdhsa_exception_fp_ieee_underflow 0
		.amdhsa_exception_fp_ieee_inexact 0
		.amdhsa_exception_int_div_zero 0
	.end_amdhsa_kernel
	.text
.Lfunc_end85:
	.size	Transform_I32_S_110_16_16_VW_4, .Lfunc_end85-Transform_I32_S_110_16_16_VW_4
                                        ; -- End function
	.section	.AMDGPU.csdata,"",@progbits
; Kernel info:
; codeLenInByte = 1812
; NumSgprs: 36
; NumVgprs: 42
; ScratchSize: 64
; MemoryBound: 0
; FloatMode: 240
; IeeeMode: 1
; LDSByteSize: 0 bytes/workgroup (compile time only)
; SGPRBlocks: 4
; VGPRBlocks: 5
; NumSGPRsForWavesPerEU: 36
; NumVGPRsForWavesPerEU: 42
; Occupancy: 16
; WaveLimiterHint : 1
; COMPUTE_PGM_RSRC2:SCRATCH_EN: 1
; COMPUTE_PGM_RSRC2:USER_SGPR: 14
; COMPUTE_PGM_RSRC2:TRAP_HANDLER: 0
; COMPUTE_PGM_RSRC2:TGID_X_EN: 1
; COMPUTE_PGM_RSRC2:TGID_Y_EN: 0
; COMPUTE_PGM_RSRC2:TGID_Z_EN: 1
; COMPUTE_PGM_RSRC2:TIDIG_COMP_CNT: 0
	.text
	.protected	Transform_I32_S_101_16_16_VW_1 ; -- Begin function Transform_I32_S_101_16_16_VW_1
	.globl	Transform_I32_S_101_16_16_VW_1
	.p2align	8
	.type	Transform_I32_S_101_16_16_VW_1,@function
Transform_I32_S_101_16_16_VW_1:         ; @Transform_I32_S_101_16_16_VW_1
; %bb.0:
	s_mov_b64 s[22:23], s[0:1]
	s_load_b32 s0, s[0:1], 0x64
	v_mov_b32_e32 v41, v0
	s_mov_b32 s21, s15
	s_mov_b32 s24, s14
	;; [unrolled: 1-line block ×3, first 2 shown]
	s_waitcnt lgkmcnt(0)
	v_cmp_eq_u16_e64 s0, 0x100, s0
	s_delay_alu instid0(VALU_DEP_1)
	s_and_b32 vcc_lo, exec_lo, s0
	s_mov_b32 s0, -1
	s_cbranch_vccnz .LBB86_2
; %bb.1:
	s_add_u32 s8, s22, 0x58
	s_addc_u32 s9, s23, 0
	s_getpc_b64 s[0:1]
	s_add_u32 s0, s0, __PRETTY_FUNCTION__._ZN10amd_detail9transformIifLb1ELb0ELb1ELj16ELj16ELj1EEEvPT_PKS1_S4_T0_PKS5_S5_S7_jjjjjjbb@rel32@lo+4
	s_addc_u32 s1, s1, __PRETTY_FUNCTION__._ZN10amd_detail9transformIifLb1ELb0ELb1ELj16ELj16ELj1EEEvPT_PKS1_S4_T0_PKS5_S5_S7_jjjjjjbb@rel32@hi+12
	s_delay_alu instid0(SALU_CYCLE_1) | instskip(SKIP_3) | instid1(SALU_CYCLE_1)
	v_dual_mov_b32 v0, s0 :: v_dual_mov_b32 v1, s1
	s_getpc_b64 s[2:3]
	s_add_u32 s2, s2, __assert_fail@rel32@lo+4
	s_addc_u32 s3, s3, __assert_fail@rel32@hi+12
	s_swappc_b64 s[30:31], s[2:3]
	; divergent unreachable
	s_mov_b32 s0, 0
.LBB86_2:
	s_delay_alu instid0(SALU_CYCLE_1)
	s_and_not1_b32 vcc_lo, exec_lo, s0
	s_cbranch_vccnz .LBB86_14
; %bb.3:
	s_load_b256 s[0:7], s[22:23], 0x38
	s_waitcnt lgkmcnt(0)
	s_and_b32 s7, s0, 15
	s_lshr_b32 s8, s0, 4
	s_cmp_lg_u32 s7, 0
	s_cselect_b32 s7, -1, 0
	s_delay_alu instid0(SALU_CYCLE_1) | instskip(SKIP_4) | instid1(VALU_DEP_1)
	s_cmp_lg_u32 s7, 0
	s_addc_u32 s10, s8, 0
	s_load_b64 s[8:9], s[22:23], 0x20
	v_cvt_f32_u32_e32 v0, s10
	s_sub_i32 s11, 0, s10
	v_rcp_iflag_f32_e32 v0, v0
	s_waitcnt_depctr 0xfff
	v_mul_f32_e32 v0, 0x4f7ffffe, v0
	s_delay_alu instid0(VALU_DEP_1) | instskip(NEXT) | instid1(VALU_DEP_1)
	v_cvt_u32_f32_e32 v0, v0
	v_readfirstlane_b32 s7, v0
	s_delay_alu instid0(VALU_DEP_1) | instskip(NEXT) | instid1(SALU_CYCLE_1)
	s_mul_i32 s11, s11, s7
	s_mul_hi_u32 s11, s7, s11
	s_delay_alu instid0(SALU_CYCLE_1)
	s_add_i32 s7, s7, s11
	s_waitcnt lgkmcnt(0)
	s_cmp_eq_u64 s[8:9], 0
	s_mul_hi_u32 s11, s24, s7
	s_cbranch_scc1 .LBB86_6
; %bb.4:
	s_load_b32 s7, s[8:9], 0x0
	s_load_b64 s[8:9], s[22:23], 0x30
	s_waitcnt lgkmcnt(0)
	s_cmp_eq_u64 s[8:9], 0
	s_cbranch_scc1 .LBB86_7
.LBB86_5:
	s_load_b32 s12, s[8:9], 0x0
	s_branch .LBB86_8
.LBB86_6:
	s_clause 0x1
	s_load_b32 s7, s[22:23], 0x18
	s_load_b64 s[8:9], s[22:23], 0x30
	s_waitcnt lgkmcnt(0)
	s_cmp_eq_u64 s[8:9], 0
	s_cbranch_scc0 .LBB86_5
.LBB86_7:
	s_load_b32 s12, s[22:23], 0x28
.LBB86_8:
	s_mul_i32 s8, s11, s10
	s_add_i32 s9, s11, 1
	s_sub_i32 s8, s24, s8
	v_and_b32_e32 v0, 15, v41
	s_sub_i32 s13, s8, s10
	s_cmp_ge_u32 s8, s10
	v_lshrrev_b32_e32 v2, 4, v41
	s_cselect_b32 s9, s9, s11
	s_cselect_b32 s8, s13, s8
	s_add_i32 s11, s9, 1
	s_cmp_ge_u32 s8, s10
	s_cselect_b32 s8, s11, s9
	s_delay_alu instid0(SALU_CYCLE_1) | instskip(NEXT) | instid1(SALU_CYCLE_1)
	s_mul_i32 s9, s8, s10
	s_sub_i32 s9, s24, s9
	s_delay_alu instid0(SALU_CYCLE_1) | instskip(SKIP_1) | instid1(VALU_DEP_2)
	v_lshl_or_b32 v1, s9, 4, v0
	v_lshl_add_u32 v0, s8, 4, v2
	v_cmp_gt_u32_e32 vcc_lo, s0, v1
	s_delay_alu instid0(VALU_DEP_2) | instskip(NEXT) | instid1(VALU_DEP_1)
	v_cmp_gt_u32_e64 s0, s1, v0
	s_and_b32 s0, vcc_lo, s0
	s_delay_alu instid0(SALU_CYCLE_1)
	s_and_saveexec_b32 s1, s0
	s_cbranch_execz .LBB86_14
; %bb.9:
	s_clause 0x1
	s_load_b128 s[8:11], s[22:23], 0x0
	s_load_b64 s[0:1], s[22:23], 0x10
	v_dual_mov_b32 v3, 0 :: v_dual_mov_b32 v2, 0
	s_mul_i32 s21, s21, s5
	s_waitcnt lgkmcnt(0)
	s_cmp_eq_u64 s[10:11], 0
	s_cbranch_scc1 .LBB86_11
; %bb.10:
	s_bitcmp1_b32 s6, 0
	v_mov_b32_e32 v5, 0
	s_cselect_b32 vcc_lo, -1, 0
	v_cndmask_b32_e32 v2, v1, v0, vcc_lo
	v_cndmask_b32_e32 v4, v0, v1, vcc_lo
	s_delay_alu instid0(VALU_DEP_2) | instskip(NEXT) | instid1(VALU_DEP_1)
	v_mul_lo_u32 v2, v2, s2
	v_add3_u32 v4, v4, s21, v2
	s_delay_alu instid0(VALU_DEP_1) | instskip(NEXT) | instid1(VALU_DEP_1)
	v_lshlrev_b64 v[4:5], 2, v[4:5]
	v_add_co_u32 v4, vcc_lo, s10, v4
	s_delay_alu instid0(VALU_DEP_2)
	v_add_co_ci_u32_e32 v5, vcc_lo, s11, v5, vcc_lo
	global_load_b32 v2, v[4:5], off
	s_waitcnt vmcnt(0)
	v_cvt_f32_i32_e32 v2, v2
.LBB86_11:
	s_cmp_eq_u64 s[0:1], 0
	s_cbranch_scc1 .LBB86_13
; %bb.12:
	s_load_b32 s2, s[22:23], 0x50
	v_mov_b32_e32 v4, 0
	s_waitcnt lgkmcnt(0)
	s_bitcmp1_b32 s2, 8
	s_cselect_b32 vcc_lo, -1, 0
	v_cndmask_b32_e32 v3, v0, v1, vcc_lo
	v_cndmask_b32_e32 v5, v1, v0, vcc_lo
	s_delay_alu instid0(VALU_DEP_2) | instskip(NEXT) | instid1(VALU_DEP_1)
	v_mul_lo_u32 v3, v3, s3
	v_add3_u32 v3, v5, s21, v3
	s_delay_alu instid0(VALU_DEP_1) | instskip(NEXT) | instid1(VALU_DEP_1)
	v_lshlrev_b64 v[3:4], 2, v[3:4]
	v_add_co_u32 v3, vcc_lo, s0, v3
	s_delay_alu instid0(VALU_DEP_2)
	v_add_co_ci_u32_e32 v4, vcc_lo, s1, v4, vcc_lo
	global_load_b32 v3, v[3:4], off
	s_waitcnt vmcnt(0)
	v_cvt_f32_i32_e32 v3, v3
.LBB86_13:
	v_mul_lo_u32 v4, v1, s4
	v_mov_b32_e32 v1, 0
	s_delay_alu instid0(VALU_DEP_3) | instskip(NEXT) | instid1(VALU_DEP_1)
	v_mul_f32_e32 v3, s12, v3
	v_fmac_f32_e32 v3, s7, v2
	s_delay_alu instid0(VALU_DEP_4) | instskip(NEXT) | instid1(VALU_DEP_2)
	v_add3_u32 v0, v0, s21, v4
	v_cvt_i32_f32_e32 v2, v3
	s_delay_alu instid0(VALU_DEP_2) | instskip(NEXT) | instid1(VALU_DEP_1)
	v_lshlrev_b64 v[0:1], 2, v[0:1]
	v_add_co_u32 v0, vcc_lo, s8, v0
	s_delay_alu instid0(VALU_DEP_2)
	v_add_co_ci_u32_e32 v1, vcc_lo, s9, v1, vcc_lo
	global_store_b32 v[0:1], v2, off
.LBB86_14:
	s_endpgm
	.section	.rodata,"a",@progbits
	.p2align	6, 0x0
	.amdhsa_kernel Transform_I32_S_101_16_16_VW_1
		.amdhsa_group_segment_fixed_size 0
		.amdhsa_private_segment_fixed_size 64
		.amdhsa_kernarg_size 344
		.amdhsa_user_sgpr_count 14
		.amdhsa_user_sgpr_dispatch_ptr 0
		.amdhsa_user_sgpr_queue_ptr 0
		.amdhsa_user_sgpr_kernarg_segment_ptr 1
		.amdhsa_user_sgpr_dispatch_id 0
		.amdhsa_user_sgpr_private_segment_size 0
		.amdhsa_wavefront_size32 1
		.amdhsa_uses_dynamic_stack 0
		.amdhsa_enable_private_segment 1
		.amdhsa_system_sgpr_workgroup_id_x 1
		.amdhsa_system_sgpr_workgroup_id_y 0
		.amdhsa_system_sgpr_workgroup_id_z 1
		.amdhsa_system_sgpr_workgroup_info 0
		.amdhsa_system_vgpr_workitem_id 0
		.amdhsa_next_free_vgpr 42
		.amdhsa_next_free_sgpr 34
		.amdhsa_reserve_vcc 1
		.amdhsa_float_round_mode_32 0
		.amdhsa_float_round_mode_16_64 0
		.amdhsa_float_denorm_mode_32 3
		.amdhsa_float_denorm_mode_16_64 3
		.amdhsa_dx10_clamp 1
		.amdhsa_ieee_mode 1
		.amdhsa_fp16_overflow 0
		.amdhsa_workgroup_processor_mode 1
		.amdhsa_memory_ordered 1
		.amdhsa_forward_progress 0
		.amdhsa_shared_vgpr_count 0
		.amdhsa_exception_fp_ieee_invalid_op 0
		.amdhsa_exception_fp_denorm_src 0
		.amdhsa_exception_fp_ieee_div_zero 0
		.amdhsa_exception_fp_ieee_overflow 0
		.amdhsa_exception_fp_ieee_underflow 0
		.amdhsa_exception_fp_ieee_inexact 0
		.amdhsa_exception_int_div_zero 0
	.end_amdhsa_kernel
	.text
.Lfunc_end86:
	.size	Transform_I32_S_101_16_16_VW_1, .Lfunc_end86-Transform_I32_S_101_16_16_VW_1
                                        ; -- End function
	.section	.AMDGPU.csdata,"",@progbits
; Kernel info:
; codeLenInByte = 768
; NumSgprs: 36
; NumVgprs: 42
; ScratchSize: 64
; MemoryBound: 0
; FloatMode: 240
; IeeeMode: 1
; LDSByteSize: 0 bytes/workgroup (compile time only)
; SGPRBlocks: 4
; VGPRBlocks: 5
; NumSGPRsForWavesPerEU: 36
; NumVGPRsForWavesPerEU: 42
; Occupancy: 16
; WaveLimiterHint : 1
; COMPUTE_PGM_RSRC2:SCRATCH_EN: 1
; COMPUTE_PGM_RSRC2:USER_SGPR: 14
; COMPUTE_PGM_RSRC2:TRAP_HANDLER: 0
; COMPUTE_PGM_RSRC2:TGID_X_EN: 1
; COMPUTE_PGM_RSRC2:TGID_Y_EN: 0
; COMPUTE_PGM_RSRC2:TGID_Z_EN: 1
; COMPUTE_PGM_RSRC2:TIDIG_COMP_CNT: 0
	.text
	.protected	Transform_I32_S_101_16_16_VW_4 ; -- Begin function Transform_I32_S_101_16_16_VW_4
	.globl	Transform_I32_S_101_16_16_VW_4
	.p2align	8
	.type	Transform_I32_S_101_16_16_VW_4,@function
Transform_I32_S_101_16_16_VW_4:         ; @Transform_I32_S_101_16_16_VW_4
; %bb.0:
	s_mov_b64 s[22:23], s[0:1]
	s_load_b32 s0, s[0:1], 0x64
	v_mov_b32_e32 v41, v0
	s_mov_b32 s24, s15
	s_mov_b32 s21, s14
	;; [unrolled: 1-line block ×3, first 2 shown]
	s_waitcnt lgkmcnt(0)
	v_cmp_eq_u16_e64 s0, 0x100, s0
	s_delay_alu instid0(VALU_DEP_1)
	s_and_b32 vcc_lo, exec_lo, s0
	s_mov_b32 s0, -1
	s_cbranch_vccnz .LBB87_2
; %bb.1:
	s_add_u32 s8, s22, 0x58
	s_addc_u32 s9, s23, 0
	s_getpc_b64 s[0:1]
	s_add_u32 s0, s0, __PRETTY_FUNCTION__._ZN10amd_detail9transformIifLb1ELb0ELb1ELj16ELj16ELj4EEEvPT_PKS1_S4_T0_PKS5_S5_S7_jjjjjjbb@rel32@lo+4
	s_addc_u32 s1, s1, __PRETTY_FUNCTION__._ZN10amd_detail9transformIifLb1ELb0ELb1ELj16ELj16ELj4EEEvPT_PKS1_S4_T0_PKS5_S5_S7_jjjjjjbb@rel32@hi+12
	s_delay_alu instid0(SALU_CYCLE_1) | instskip(SKIP_3) | instid1(SALU_CYCLE_1)
	v_dual_mov_b32 v0, s0 :: v_dual_mov_b32 v1, s1
	s_getpc_b64 s[2:3]
	s_add_u32 s2, s2, __assert_fail@rel32@lo+4
	s_addc_u32 s3, s3, __assert_fail@rel32@hi+12
	s_swappc_b64 s[30:31], s[2:3]
	; divergent unreachable
	s_mov_b32 s0, 0
.LBB87_2:
	s_delay_alu instid0(SALU_CYCLE_1)
	s_and_not1_b32 vcc_lo, exec_lo, s0
	s_cbranch_vccnz .LBB87_55
; %bb.3:
	s_load_b128 s[0:3], s[22:23], 0x38
	s_waitcnt lgkmcnt(0)
	s_and_b32 s4, s0, 15
	s_lshr_b32 s5, s0, 4
	s_cmp_lg_u32 s4, 0
	s_cselect_b32 s4, -1, 0
	s_delay_alu instid0(SALU_CYCLE_1) | instskip(SKIP_4) | instid1(VALU_DEP_1)
	s_cmp_lg_u32 s4, 0
	s_addc_u32 s6, s5, 0
	s_load_b64 s[4:5], s[22:23], 0x20
	v_cvt_f32_u32_e32 v0, s6
	s_sub_i32 s8, 0, s6
	v_rcp_iflag_f32_e32 v0, v0
	s_waitcnt_depctr 0xfff
	v_mul_f32_e32 v0, 0x4f7ffffe, v0
	s_delay_alu instid0(VALU_DEP_1) | instskip(NEXT) | instid1(VALU_DEP_1)
	v_cvt_u32_f32_e32 v0, v0
	v_readfirstlane_b32 s7, v0
	s_delay_alu instid0(VALU_DEP_1) | instskip(NEXT) | instid1(SALU_CYCLE_1)
	s_mul_i32 s8, s8, s7
	s_mul_hi_u32 s8, s7, s8
	s_delay_alu instid0(SALU_CYCLE_1)
	s_add_i32 s7, s7, s8
	s_waitcnt lgkmcnt(0)
	s_cmp_eq_u64 s[4:5], 0
	s_mul_hi_u32 s7, s21, s7
	s_cbranch_scc1 .LBB87_6
; %bb.4:
	s_load_b32 s15, s[4:5], 0x0
	s_load_b64 s[4:5], s[22:23], 0x30
	s_waitcnt lgkmcnt(0)
	s_cmp_eq_u64 s[4:5], 0
	s_cbranch_scc1 .LBB87_7
.LBB87_5:
	s_load_b32 s16, s[4:5], 0x0
	s_branch .LBB87_8
.LBB87_6:
	s_clause 0x1
	s_load_b32 s15, s[22:23], 0x18
	s_load_b64 s[4:5], s[22:23], 0x30
	s_waitcnt lgkmcnt(0)
	s_cmp_eq_u64 s[4:5], 0
	s_cbranch_scc0 .LBB87_5
.LBB87_7:
	s_load_b32 s16, s[22:23], 0x28
.LBB87_8:
	s_mul_i32 s4, s7, s6
	s_add_i32 s5, s7, 1
	s_sub_i32 s4, s21, s4
	v_and_b32_e32 v9, 15, v41
	s_sub_i32 s8, s4, s6
	s_cmp_ge_u32 s4, s6
	s_cselect_b32 s5, s5, s7
	s_cselect_b32 s4, s8, s4
	s_add_i32 s7, s5, 1
	s_cmp_ge_u32 s4, s6
	s_cselect_b32 s12, s7, s5
	s_delay_alu instid0(SALU_CYCLE_1) | instskip(NEXT) | instid1(SALU_CYCLE_1)
	s_mul_i32 s14, s12, s6
	s_sub_i32 s4, s21, s14
	s_delay_alu instid0(SALU_CYCLE_1) | instskip(NEXT) | instid1(VALU_DEP_1)
	v_lshl_or_b32 v0, s4, 4, v9
	v_cmp_gt_u32_e32 vcc_lo, s0, v0
	s_and_saveexec_b32 s0, vcc_lo
	s_cbranch_execz .LBB87_55
; %bb.9:
	v_lshrrev_b32_e32 v1, 2, v41
	s_clause 0x1
	s_load_b128 s[8:11], s[22:23], 0x48
	s_load_b128 s[4:7], s[22:23], 0x0
	s_waitcnt lgkmcnt(0)
	s_lshl_b32 s11, s12, 6
	s_load_b64 s[12:13], s[22:23], 0x10
	v_dual_mov_b32 v5, 0 :: v_dual_and_b32 v10, 0xfc, v1
	v_mov_b32_e32 v4, 0
	s_delay_alu instid0(VALU_DEP_2) | instskip(NEXT) | instid1(VALU_DEP_1)
	v_add_nc_u32_e32 v8, s11, v10
	v_add_nc_u32_e32 v11, 4, v8
	v_mad_u64_u32 v[1:2], null, v0, s2, v[8:9]
	s_bitcmp1_b32 s10, 0
	s_delay_alu instid0(VALU_DEP_2) | instskip(SKIP_4) | instid1(VALU_DEP_2)
	v_sub_nc_u32_e64 v12, v11, s1 clamp
	s_cselect_b32 vcc_lo, -1, 0
	s_cmp_lg_u64 s[6:7], 0
	s_mul_i32 s24, s24, s9
	s_cselect_b32 s10, -1, 0
	v_sub_nc_u32_e32 v13, v1, v12
	v_sub_nc_u32_e32 v6, v8, v12
	s_cmp_eq_u64 s[6:7], 0
	s_cbranch_scc1 .LBB87_11
; %bb.10:
	s_delay_alu instid0(VALU_DEP_1) | instskip(NEXT) | instid1(VALU_DEP_1)
	v_mad_u64_u32 v[1:2], null, v6, s2, v[0:1]
	v_dual_mov_b32 v2, 0 :: v_dual_cndmask_b32 v1, v13, v1
	s_delay_alu instid0(VALU_DEP_1) | instskip(NEXT) | instid1(VALU_DEP_1)
	v_add_nc_u32_e32 v1, s24, v1
	v_lshlrev_b64 v[1:2], 2, v[1:2]
	s_delay_alu instid0(VALU_DEP_1) | instskip(NEXT) | instid1(VALU_DEP_1)
	v_add_co_u32 v1, s0, s6, v1
	v_add_co_ci_u32_e64 v2, s0, s7, v2, s0
	global_load_b32 v1, v[1:2], off
	s_waitcnt vmcnt(0)
	v_cvt_f32_i32_e32 v4, v1
.LBB87_11:
	s_load_b32 s0, s[22:23], 0x50
	v_mad_u64_u32 v[1:2], null, v0, s3, v[8:9]
	s_xor_b32 s17, vcc_lo, -1
	s_delay_alu instid0(VALU_DEP_1)
	v_sub_nc_u32_e32 v7, v1, v12
	s_waitcnt lgkmcnt(0)
	s_bitcmp1_b32 s0, 8
	s_cselect_b32 s0, -1, 0
	s_cmp_lg_u64 s[12:13], 0
	s_cselect_b32 s9, -1, 0
	s_cmp_eq_u64 s[12:13], 0
	s_cbranch_scc1 .LBB87_13
; %bb.12:
	v_mad_u64_u32 v[1:2], null, v6, s3, v[0:1]
	s_delay_alu instid0(VALU_DEP_1) | instskip(NEXT) | instid1(VALU_DEP_1)
	v_cndmask_b32_e64 v1, v1, v7, s0
	v_dual_mov_b32 v2, 0 :: v_dual_add_nc_u32 v1, s24, v1
	s_delay_alu instid0(VALU_DEP_1) | instskip(NEXT) | instid1(VALU_DEP_1)
	v_lshlrev_b64 v[1:2], 2, v[1:2]
	v_add_co_u32 v1, vcc_lo, s12, v1
	s_delay_alu instid0(VALU_DEP_2)
	v_add_co_ci_u32_e32 v2, vcc_lo, s13, v2, vcc_lo
	global_load_b32 v1, v[1:2], off
	s_waitcnt vmcnt(0)
	v_cvt_f32_i32_e32 v5, v1
.LBB87_13:
	v_cndmask_b32_e64 v16, 0, 1, s17
	s_and_not1_b32 vcc_lo, exec_lo, s17
	s_cbranch_vccnz .LBB87_15
; %bb.14:
	v_add_nc_u32_e32 v1, 1, v13
	s_xor_b32 s0, s0, -1
	s_cbranch_execz .LBB87_16
	s_branch .LBB87_17
.LBB87_15:
                                        ; implicit-def: $vgpr1
	s_xor_b32 s0, s0, -1
.LBB87_16:
	v_mul_lo_u32 v1, s2, v6
	s_delay_alu instid0(VALU_DEP_1)
	v_add3_u32 v1, v1, s2, v0
.LBB87_17:
	v_cndmask_b32_e64 v17, 0, 1, s0
	s_and_not1_b32 vcc_lo, exec_lo, s0
	s_cbranch_vccnz .LBB87_19
; %bb.18:
	v_mul_lo_u32 v2, s3, v6
	s_delay_alu instid0(VALU_DEP_1)
	v_add3_u32 v2, v2, s3, v0
	s_cbranch_execz .LBB87_20
	s_branch .LBB87_21
.LBB87_19:
                                        ; implicit-def: $vgpr2
.LBB87_20:
	v_add_nc_u32_e32 v2, 1, v7
.LBB87_21:
	v_cndmask_b32_e64 v18, 0, 1, s10
	v_dual_mov_b32 v15, 0 :: v_dual_mov_b32 v14, 0
	s_and_not1_b32 vcc_lo, exec_lo, s10
	s_cbranch_vccnz .LBB87_23
; %bb.22:
	v_dual_mov_b32 v20, 0 :: v_dual_add_nc_u32 v19, s24, v1
	s_delay_alu instid0(VALU_DEP_1) | instskip(NEXT) | instid1(VALU_DEP_1)
	v_lshlrev_b64 v[19:20], 2, v[19:20]
	v_add_co_u32 v19, vcc_lo, s6, v19
	s_delay_alu instid0(VALU_DEP_2)
	v_add_co_ci_u32_e32 v20, vcc_lo, s7, v20, vcc_lo
	global_load_b32 v1, v[19:20], off
	s_waitcnt vmcnt(0)
	v_cvt_f32_i32_e32 v14, v1
.LBB87_23:
	v_cndmask_b32_e64 v19, 0, 1, s9
	s_and_not1_b32 vcc_lo, exec_lo, s9
	s_cbranch_vccnz .LBB87_25
; %bb.24:
	v_dual_mov_b32 v2, 0 :: v_dual_add_nc_u32 v1, s24, v2
	s_delay_alu instid0(VALU_DEP_1) | instskip(NEXT) | instid1(VALU_DEP_1)
	v_lshlrev_b64 v[1:2], 2, v[1:2]
	v_add_co_u32 v1, vcc_lo, s12, v1
	s_delay_alu instid0(VALU_DEP_2)
	v_add_co_ci_u32_e32 v2, vcc_lo, s13, v2, vcc_lo
	global_load_b32 v1, v[1:2], off
	s_waitcnt vmcnt(0)
	v_cvt_f32_i32_e32 v15, v1
.LBB87_25:
	v_cmp_ne_u32_e32 vcc_lo, 1, v16
	s_cbranch_vccnz .LBB87_27
; %bb.26:
	v_add_nc_u32_e32 v1, 2, v13
	v_add_nc_u32_e32 v20, 2, v6
	s_cbranch_execz .LBB87_28
	s_branch .LBB87_29
.LBB87_27:
                                        ; implicit-def: $vgpr1
	v_add_nc_u32_e32 v20, 2, v6
.LBB87_28:
	s_delay_alu instid0(VALU_DEP_1)
	v_mad_u64_u32 v[1:2], null, v20, s2, v[0:1]
.LBB87_29:
	v_cmp_ne_u32_e32 vcc_lo, 1, v17
	s_cbranch_vccnz .LBB87_31
; %bb.30:
	s_delay_alu instid0(VALU_DEP_2)
	v_mad_u64_u32 v[2:3], null, v20, s3, v[0:1]
	s_cbranch_execz .LBB87_32
	s_branch .LBB87_33
.LBB87_31:
                                        ; implicit-def: $vgpr2
.LBB87_32:
	v_add_nc_u32_e32 v2, 2, v7
.LBB87_33:
	v_cmp_ne_u32_e32 vcc_lo, 1, v18
	v_dual_mov_b32 v21, 0 :: v_dual_mov_b32 v20, 0
	s_cbranch_vccnz .LBB87_35
; %bb.34:
	v_dual_mov_b32 v23, 0 :: v_dual_add_nc_u32 v22, s24, v1
	s_delay_alu instid0(VALU_DEP_1) | instskip(NEXT) | instid1(VALU_DEP_1)
	v_lshlrev_b64 v[22:23], 2, v[22:23]
	v_add_co_u32 v22, vcc_lo, s6, v22
	s_delay_alu instid0(VALU_DEP_2)
	v_add_co_ci_u32_e32 v23, vcc_lo, s7, v23, vcc_lo
	global_load_b32 v1, v[22:23], off
	s_waitcnt vmcnt(0)
	v_cvt_f32_i32_e32 v20, v1
.LBB87_35:
	v_cmp_ne_u32_e32 vcc_lo, 1, v19
	s_cbranch_vccnz .LBB87_37
; %bb.36:
	v_dual_mov_b32 v2, 0 :: v_dual_add_nc_u32 v1, s24, v2
	s_delay_alu instid0(VALU_DEP_1) | instskip(NEXT) | instid1(VALU_DEP_1)
	v_lshlrev_b64 v[1:2], 2, v[1:2]
	v_add_co_u32 v1, vcc_lo, s12, v1
	s_delay_alu instid0(VALU_DEP_2)
	v_add_co_ci_u32_e32 v2, vcc_lo, s13, v2, vcc_lo
	global_load_b32 v1, v[1:2], off
	s_waitcnt vmcnt(0)
	v_cvt_f32_i32_e32 v21, v1
.LBB87_37:
	v_cmp_ne_u32_e32 vcc_lo, 1, v16
	s_cbranch_vccnz .LBB87_39
; %bb.38:
	v_add_nc_u32_e32 v1, 3, v13
	v_add_nc_u32_e32 v6, 3, v6
	s_cbranch_execz .LBB87_40
	s_branch .LBB87_41
.LBB87_39:
                                        ; implicit-def: $vgpr1
	v_add_nc_u32_e32 v6, 3, v6
.LBB87_40:
	s_delay_alu instid0(VALU_DEP_1)
	v_mad_u64_u32 v[1:2], null, v6, s2, v[0:1]
.LBB87_41:
	v_cmp_ne_u32_e32 vcc_lo, 1, v17
	s_cbranch_vccnz .LBB87_43
; %bb.42:
	s_delay_alu instid0(VALU_DEP_2)
	v_mad_u64_u32 v[2:3], null, v6, s3, v[0:1]
	s_cbranch_execz .LBB87_44
	s_branch .LBB87_45
.LBB87_43:
                                        ; implicit-def: $vgpr2
.LBB87_44:
	v_add_nc_u32_e32 v2, 3, v7
.LBB87_45:
	v_cmp_ne_u32_e32 vcc_lo, 1, v18
	v_dual_mov_b32 v6, 0 :: v_dual_mov_b32 v3, 0
	s_cbranch_vccnz .LBB87_47
; %bb.46:
	v_dual_mov_b32 v17, 0 :: v_dual_add_nc_u32 v16, s24, v1
	s_delay_alu instid0(VALU_DEP_1) | instskip(NEXT) | instid1(VALU_DEP_1)
	v_lshlrev_b64 v[16:17], 2, v[16:17]
	v_add_co_u32 v16, vcc_lo, s6, v16
	s_delay_alu instid0(VALU_DEP_2)
	v_add_co_ci_u32_e32 v17, vcc_lo, s7, v17, vcc_lo
	global_load_b32 v1, v[16:17], off
	s_waitcnt vmcnt(0)
	v_cvt_f32_i32_e32 v3, v1
.LBB87_47:
	v_cmp_ne_u32_e32 vcc_lo, 1, v19
	s_cbranch_vccnz .LBB87_49
; %bb.48:
	v_dual_mov_b32 v2, 0 :: v_dual_add_nc_u32 v1, s24, v2
	s_delay_alu instid0(VALU_DEP_1) | instskip(NEXT) | instid1(VALU_DEP_1)
	v_lshlrev_b64 v[1:2], 2, v[1:2]
	v_add_co_u32 v1, vcc_lo, s12, v1
	s_delay_alu instid0(VALU_DEP_2)
	v_add_co_ci_u32_e32 v2, vcc_lo, s13, v2, vcc_lo
	global_load_b32 v1, v[1:2], off
	s_waitcnt vmcnt(0)
	v_cvt_f32_i32_e32 v6, v1
.LBB87_49:
	v_dual_mul_f32 v1, s16, v5 :: v_dual_mul_f32 v2, s16, v15
	v_mul_f32_e32 v5, s16, v21
	s_delay_alu instid0(VALU_DEP_3) | instskip(SKIP_1) | instid1(VALU_DEP_3)
	v_mul_f32_e32 v7, s16, v6
	s_mov_b32 s0, exec_lo
	v_dual_fmac_f32 v1, s15, v4 :: v_dual_fmac_f32 v2, s15, v14
	s_delay_alu instid0(VALU_DEP_3) | instskip(NEXT) | instid1(VALU_DEP_3)
	v_fmac_f32_e32 v5, s15, v20
	v_fmac_f32_e32 v7, s15, v3
	s_delay_alu instid0(VALU_DEP_3) | instskip(NEXT) | instid1(VALU_DEP_4)
	v_cvt_i32_f32_e32 v13, v1
	v_cvt_i32_f32_e32 v1, v2
	s_delay_alu instid0(VALU_DEP_4) | instskip(NEXT) | instid1(VALU_DEP_4)
	v_cvt_i32_f32_e32 v6, v5
	v_cvt_i32_f32_e32 v5, v7
	v_cmpx_ge_u32_e64 s1, v11
	s_xor_b32 s0, exec_lo, s0
	s_cbranch_execz .LBB87_51
; %bb.50:
	v_mul_lo_u32 v0, v0, s8
	s_delay_alu instid0(VALU_DEP_1) | instskip(NEXT) | instid1(VALU_DEP_1)
	v_add3_u32 v0, v8, s24, v0
	v_sub_nc_u32_e32 v2, v0, v12
	v_mov_b32_e32 v3, 0
	s_delay_alu instid0(VALU_DEP_2) | instskip(NEXT) | instid1(VALU_DEP_2)
	v_add_nc_u32_e32 v7, 1, v2
	v_lshlrev_b64 v[11:12], 2, v[2:3]
	v_add_nc_u32_e32 v9, 2, v2
	v_add_nc_u32_e32 v2, 3, v2
	v_mov_b32_e32 v8, v3
	v_mov_b32_e32 v10, v3
	v_add_co_u32 v11, vcc_lo, s4, v11
	s_delay_alu instid0(VALU_DEP_3) | instskip(NEXT) | instid1(VALU_DEP_3)
	v_lshlrev_b64 v[7:8], 2, v[7:8]
	v_lshlrev_b64 v[9:10], 2, v[9:10]
	v_add_co_ci_u32_e32 v12, vcc_lo, s5, v12, vcc_lo
	v_lshlrev_b64 v[2:3], 2, v[2:3]
	s_delay_alu instid0(VALU_DEP_4)
	v_add_co_u32 v7, vcc_lo, s4, v7
	v_add_co_ci_u32_e32 v8, vcc_lo, s5, v8, vcc_lo
	v_add_co_u32 v9, vcc_lo, s4, v9
	v_add_co_ci_u32_e32 v10, vcc_lo, s5, v10, vcc_lo
	;; [unrolled: 2-line block ×3, first 2 shown]
	s_clause 0x3
	global_store_b32 v[11:12], v13, off
	global_store_b32 v[7:8], v1, off
	;; [unrolled: 1-line block ×4, first 2 shown]
                                        ; implicit-def: $vgpr0_vgpr1_vgpr2_vgpr3
                                        ; implicit-def: $vgpr4_vgpr5_vgpr6_vgpr7
                                        ; implicit-def: $vgpr9
                                        ; implicit-def: $vgpr10
                                        ; implicit-def: $vgpr8
                                        ; implicit-def: $vgpr11
                                        ; implicit-def: $vgpr12
                                        ; implicit-def: $vgpr13
                                        ; implicit-def: $vgpr2_vgpr3_vgpr4_vgpr5
.LBB87_51:
	s_and_not1_saveexec_b32 s0, s0
	s_cbranch_execz .LBB87_55
; %bb.52:
	v_cmp_gt_u32_e32 vcc_lo, 4, v12
	s_and_b32 exec_lo, exec_lo, vcc_lo
	s_cbranch_execz .LBB87_55
; %bb.53:
	v_lshl_or_b32 v0, s21, 4, v9
	s_lshl_b32 s0, s14, 4
	v_min_u32_e32 v2, s1, v11
	s_add_i32 s11, s11, s24
	s_mov_b32 s1, 0
	v_subrev_nc_u32_e32 v0, s0, v0
	s_delay_alu instid0(VALU_DEP_1) | instskip(SKIP_1) | instid1(VALU_DEP_1)
	v_mul_lo_u32 v3, s8, v0
	v_sub_nc_u32_e32 v0, v8, v2
	v_add_nc_u32_e32 v0, 3, v0
	s_delay_alu instid0(VALU_DEP_3)
	v_add3_u32 v2, s11, v3, v10
	v_mov_b32_e32 v3, 0
	.p2align	6
.LBB87_54:                              ; =>This Inner Loop Header: Depth=1
	s_delay_alu instid0(VALU_DEP_3) | instskip(NEXT) | instid1(VALU_DEP_2)
	v_add_nc_u32_e32 v0, 1, v0
	v_lshlrev_b64 v[7:8], 2, v[2:3]
	v_add_nc_u32_e32 v2, 1, v2
	s_delay_alu instid0(VALU_DEP_3) | instskip(SKIP_3) | instid1(VALU_DEP_2)
	v_cmp_eq_u32_e32 vcc_lo, 1, v0
	v_cmp_eq_u32_e64 s0, 2, v0
	v_cndmask_b32_e32 v4, v13, v1, vcc_lo
	v_cmp_lt_u32_e32 vcc_lo, 2, v0
	v_cndmask_b32_e64 v4, v4, v6, s0
	v_add_co_u32 v7, s0, s4, v7
	s_delay_alu instid0(VALU_DEP_1) | instskip(SKIP_2) | instid1(VALU_DEP_1)
	v_add_co_ci_u32_e64 v8, s0, s5, v8, s0
	v_cmp_eq_u32_e64 s0, 3, v0
	s_or_b32 s1, vcc_lo, s1
	v_cndmask_b32_e64 v4, v4, v5, s0
	global_store_b32 v[7:8], v4, off
	s_and_not1_b32 exec_lo, exec_lo, s1
	s_cbranch_execnz .LBB87_54
.LBB87_55:
	s_endpgm
	.section	.rodata,"a",@progbits
	.p2align	6, 0x0
	.amdhsa_kernel Transform_I32_S_101_16_16_VW_4
		.amdhsa_group_segment_fixed_size 0
		.amdhsa_private_segment_fixed_size 64
		.amdhsa_kernarg_size 344
		.amdhsa_user_sgpr_count 14
		.amdhsa_user_sgpr_dispatch_ptr 0
		.amdhsa_user_sgpr_queue_ptr 0
		.amdhsa_user_sgpr_kernarg_segment_ptr 1
		.amdhsa_user_sgpr_dispatch_id 0
		.amdhsa_user_sgpr_private_segment_size 0
		.amdhsa_wavefront_size32 1
		.amdhsa_uses_dynamic_stack 0
		.amdhsa_enable_private_segment 1
		.amdhsa_system_sgpr_workgroup_id_x 1
		.amdhsa_system_sgpr_workgroup_id_y 0
		.amdhsa_system_sgpr_workgroup_id_z 1
		.amdhsa_system_sgpr_workgroup_info 0
		.amdhsa_system_vgpr_workitem_id 0
		.amdhsa_next_free_vgpr 42
		.amdhsa_next_free_sgpr 34
		.amdhsa_reserve_vcc 1
		.amdhsa_float_round_mode_32 0
		.amdhsa_float_round_mode_16_64 0
		.amdhsa_float_denorm_mode_32 3
		.amdhsa_float_denorm_mode_16_64 3
		.amdhsa_dx10_clamp 1
		.amdhsa_ieee_mode 1
		.amdhsa_fp16_overflow 0
		.amdhsa_workgroup_processor_mode 1
		.amdhsa_memory_ordered 1
		.amdhsa_forward_progress 0
		.amdhsa_shared_vgpr_count 0
		.amdhsa_exception_fp_ieee_invalid_op 0
		.amdhsa_exception_fp_denorm_src 0
		.amdhsa_exception_fp_ieee_div_zero 0
		.amdhsa_exception_fp_ieee_overflow 0
		.amdhsa_exception_fp_ieee_underflow 0
		.amdhsa_exception_fp_ieee_inexact 0
		.amdhsa_exception_int_div_zero 0
	.end_amdhsa_kernel
	.text
.Lfunc_end87:
	.size	Transform_I32_S_101_16_16_VW_4, .Lfunc_end87-Transform_I32_S_101_16_16_VW_4
                                        ; -- End function
	.section	.AMDGPU.csdata,"",@progbits
; Kernel info:
; codeLenInByte = 1852
; NumSgprs: 36
; NumVgprs: 42
; ScratchSize: 64
; MemoryBound: 0
; FloatMode: 240
; IeeeMode: 1
; LDSByteSize: 0 bytes/workgroup (compile time only)
; SGPRBlocks: 4
; VGPRBlocks: 5
; NumSGPRsForWavesPerEU: 36
; NumVGPRsForWavesPerEU: 42
; Occupancy: 16
; WaveLimiterHint : 1
; COMPUTE_PGM_RSRC2:SCRATCH_EN: 1
; COMPUTE_PGM_RSRC2:USER_SGPR: 14
; COMPUTE_PGM_RSRC2:TRAP_HANDLER: 0
; COMPUTE_PGM_RSRC2:TGID_X_EN: 1
; COMPUTE_PGM_RSRC2:TGID_Y_EN: 0
; COMPUTE_PGM_RSRC2:TGID_Z_EN: 1
; COMPUTE_PGM_RSRC2:TIDIG_COMP_CNT: 0
	.text
	.protected	Transform_I32_S_100_16_16_VW_1 ; -- Begin function Transform_I32_S_100_16_16_VW_1
	.globl	Transform_I32_S_100_16_16_VW_1
	.p2align	8
	.type	Transform_I32_S_100_16_16_VW_1,@function
Transform_I32_S_100_16_16_VW_1:         ; @Transform_I32_S_100_16_16_VW_1
; %bb.0:
	s_mov_b64 s[22:23], s[0:1]
	s_load_b32 s0, s[0:1], 0x64
	v_mov_b32_e32 v41, v0
	s_mov_b32 s21, s15
	s_mov_b32 s24, s14
	;; [unrolled: 1-line block ×3, first 2 shown]
	s_waitcnt lgkmcnt(0)
	v_cmp_eq_u16_e64 s0, 0x100, s0
	s_delay_alu instid0(VALU_DEP_1)
	s_and_b32 vcc_lo, exec_lo, s0
	s_mov_b32 s0, -1
	s_cbranch_vccnz .LBB88_2
; %bb.1:
	s_add_u32 s8, s22, 0x58
	s_addc_u32 s9, s23, 0
	s_getpc_b64 s[0:1]
	s_add_u32 s0, s0, __PRETTY_FUNCTION__._ZN10amd_detail9transformIifLb1ELb0ELb0ELj16ELj16ELj1EEEvPT_PKS1_S4_T0_PKS5_S5_S7_jjjjjjbb@rel32@lo+4
	s_addc_u32 s1, s1, __PRETTY_FUNCTION__._ZN10amd_detail9transformIifLb1ELb0ELb0ELj16ELj16ELj1EEEvPT_PKS1_S4_T0_PKS5_S5_S7_jjjjjjbb@rel32@hi+12
	s_delay_alu instid0(SALU_CYCLE_1) | instskip(SKIP_3) | instid1(SALU_CYCLE_1)
	v_dual_mov_b32 v0, s0 :: v_dual_mov_b32 v1, s1
	s_getpc_b64 s[2:3]
	s_add_u32 s2, s2, __assert_fail@rel32@lo+4
	s_addc_u32 s3, s3, __assert_fail@rel32@hi+12
	s_swappc_b64 s[30:31], s[2:3]
	; divergent unreachable
	s_mov_b32 s0, 0
.LBB88_2:
	s_delay_alu instid0(SALU_CYCLE_1)
	s_and_not1_b32 vcc_lo, exec_lo, s0
	s_cbranch_vccnz .LBB88_14
; %bb.3:
	s_load_b256 s[0:7], s[22:23], 0x38
	s_waitcnt lgkmcnt(0)
	s_and_b32 s7, s0, 15
	s_lshr_b32 s8, s0, 4
	s_cmp_lg_u32 s7, 0
	s_cselect_b32 s7, -1, 0
	s_delay_alu instid0(SALU_CYCLE_1) | instskip(SKIP_4) | instid1(VALU_DEP_1)
	s_cmp_lg_u32 s7, 0
	s_addc_u32 s10, s8, 0
	s_load_b64 s[8:9], s[22:23], 0x20
	v_cvt_f32_u32_e32 v0, s10
	s_sub_i32 s11, 0, s10
	v_rcp_iflag_f32_e32 v0, v0
	s_waitcnt_depctr 0xfff
	v_mul_f32_e32 v0, 0x4f7ffffe, v0
	s_delay_alu instid0(VALU_DEP_1) | instskip(NEXT) | instid1(VALU_DEP_1)
	v_cvt_u32_f32_e32 v0, v0
	v_readfirstlane_b32 s7, v0
	s_delay_alu instid0(VALU_DEP_1) | instskip(NEXT) | instid1(SALU_CYCLE_1)
	s_mul_i32 s11, s11, s7
	s_mul_hi_u32 s11, s7, s11
	s_delay_alu instid0(SALU_CYCLE_1)
	s_add_i32 s7, s7, s11
	s_waitcnt lgkmcnt(0)
	s_cmp_eq_u64 s[8:9], 0
	s_mul_hi_u32 s11, s24, s7
	s_cbranch_scc1 .LBB88_6
; %bb.4:
	s_load_b32 s7, s[8:9], 0x0
	s_load_b64 s[8:9], s[22:23], 0x30
	s_waitcnt lgkmcnt(0)
	s_cmp_eq_u64 s[8:9], 0
	s_cbranch_scc1 .LBB88_7
.LBB88_5:
	s_load_b32 s12, s[8:9], 0x0
	s_branch .LBB88_8
.LBB88_6:
	s_clause 0x1
	s_load_b32 s7, s[22:23], 0x18
	s_load_b64 s[8:9], s[22:23], 0x30
	s_waitcnt lgkmcnt(0)
	s_cmp_eq_u64 s[8:9], 0
	s_cbranch_scc0 .LBB88_5
.LBB88_7:
	s_load_b32 s12, s[22:23], 0x28
.LBB88_8:
	s_mul_i32 s8, s11, s10
	s_add_i32 s9, s11, 1
	s_sub_i32 s8, s24, s8
	v_and_b32_e32 v0, 15, v41
	s_sub_i32 s13, s8, s10
	s_cmp_ge_u32 s8, s10
	v_lshrrev_b32_e32 v1, 4, v41
	s_cselect_b32 s9, s9, s11
	s_cselect_b32 s8, s13, s8
	s_add_i32 s11, s9, 1
	s_cmp_ge_u32 s8, s10
	s_cselect_b32 s8, s11, s9
	s_delay_alu instid0(SALU_CYCLE_1) | instskip(SKIP_2) | instid1(SALU_CYCLE_1)
	s_mul_i32 s9, s8, s10
	v_lshl_add_u32 v1, s8, 4, v1
	s_sub_i32 s9, s24, s9
	v_lshl_or_b32 v0, s9, 4, v0
	s_delay_alu instid0(VALU_DEP_1) | instskip(NEXT) | instid1(VALU_DEP_3)
	v_cmp_gt_u32_e32 vcc_lo, s0, v0
	v_cmp_gt_u32_e64 s0, s1, v1
	s_delay_alu instid0(VALU_DEP_1) | instskip(NEXT) | instid1(SALU_CYCLE_1)
	s_and_b32 s0, vcc_lo, s0
	s_and_saveexec_b32 s1, s0
	s_cbranch_execz .LBB88_14
; %bb.9:
	s_clause 0x1
	s_load_b128 s[8:11], s[22:23], 0x0
	s_load_b64 s[0:1], s[22:23], 0x10
	v_dual_mov_b32 v3, 0 :: v_dual_mov_b32 v2, 0
	s_mul_i32 s21, s21, s5
	s_waitcnt lgkmcnt(0)
	s_cmp_eq_u64 s[10:11], 0
	s_cbranch_scc1 .LBB88_11
; %bb.10:
	s_bitcmp1_b32 s6, 0
	v_mov_b32_e32 v5, 0
	s_cselect_b32 vcc_lo, -1, 0
	v_cndmask_b32_e32 v2, v0, v1, vcc_lo
	v_cndmask_b32_e32 v4, v1, v0, vcc_lo
	s_delay_alu instid0(VALU_DEP_2) | instskip(NEXT) | instid1(VALU_DEP_1)
	v_mul_lo_u32 v2, v2, s2
	v_add3_u32 v4, v4, s21, v2
	s_delay_alu instid0(VALU_DEP_1) | instskip(NEXT) | instid1(VALU_DEP_1)
	v_lshlrev_b64 v[4:5], 2, v[4:5]
	v_add_co_u32 v4, vcc_lo, s10, v4
	s_delay_alu instid0(VALU_DEP_2)
	v_add_co_ci_u32_e32 v5, vcc_lo, s11, v5, vcc_lo
	global_load_b32 v2, v[4:5], off
	s_waitcnt vmcnt(0)
	v_cvt_f32_i32_e32 v2, v2
.LBB88_11:
	s_cmp_eq_u64 s[0:1], 0
	s_cbranch_scc1 .LBB88_13
; %bb.12:
	s_load_b32 s2, s[22:23], 0x50
	v_mov_b32_e32 v4, 0
	s_waitcnt lgkmcnt(0)
	s_bitcmp1_b32 s2, 8
	s_cselect_b32 vcc_lo, -1, 0
	v_cndmask_b32_e32 v3, v1, v0, vcc_lo
	v_cndmask_b32_e32 v5, v0, v1, vcc_lo
	s_delay_alu instid0(VALU_DEP_2) | instskip(NEXT) | instid1(VALU_DEP_1)
	v_mul_lo_u32 v3, v3, s3
	v_add3_u32 v3, v5, s21, v3
	s_delay_alu instid0(VALU_DEP_1) | instskip(NEXT) | instid1(VALU_DEP_1)
	v_lshlrev_b64 v[3:4], 2, v[3:4]
	v_add_co_u32 v3, vcc_lo, s0, v3
	s_delay_alu instid0(VALU_DEP_2)
	v_add_co_ci_u32_e32 v4, vcc_lo, s1, v4, vcc_lo
	global_load_b32 v3, v[3:4], off
	s_waitcnt vmcnt(0)
	v_cvt_f32_i32_e32 v3, v3
.LBB88_13:
	v_mul_lo_u32 v4, v1, s4
	v_mov_b32_e32 v1, 0
	s_delay_alu instid0(VALU_DEP_3) | instskip(NEXT) | instid1(VALU_DEP_1)
	v_mul_f32_e32 v3, s12, v3
	v_fmac_f32_e32 v3, s7, v2
	s_delay_alu instid0(VALU_DEP_4) | instskip(NEXT) | instid1(VALU_DEP_2)
	v_add3_u32 v0, v0, s21, v4
	v_cvt_i32_f32_e32 v2, v3
	s_delay_alu instid0(VALU_DEP_2) | instskip(NEXT) | instid1(VALU_DEP_1)
	v_lshlrev_b64 v[0:1], 2, v[0:1]
	v_add_co_u32 v0, vcc_lo, s8, v0
	s_delay_alu instid0(VALU_DEP_2)
	v_add_co_ci_u32_e32 v1, vcc_lo, s9, v1, vcc_lo
	global_store_b32 v[0:1], v2, off
.LBB88_14:
	s_endpgm
	.section	.rodata,"a",@progbits
	.p2align	6, 0x0
	.amdhsa_kernel Transform_I32_S_100_16_16_VW_1
		.amdhsa_group_segment_fixed_size 0
		.amdhsa_private_segment_fixed_size 64
		.amdhsa_kernarg_size 344
		.amdhsa_user_sgpr_count 14
		.amdhsa_user_sgpr_dispatch_ptr 0
		.amdhsa_user_sgpr_queue_ptr 0
		.amdhsa_user_sgpr_kernarg_segment_ptr 1
		.amdhsa_user_sgpr_dispatch_id 0
		.amdhsa_user_sgpr_private_segment_size 0
		.amdhsa_wavefront_size32 1
		.amdhsa_uses_dynamic_stack 0
		.amdhsa_enable_private_segment 1
		.amdhsa_system_sgpr_workgroup_id_x 1
		.amdhsa_system_sgpr_workgroup_id_y 0
		.amdhsa_system_sgpr_workgroup_id_z 1
		.amdhsa_system_sgpr_workgroup_info 0
		.amdhsa_system_vgpr_workitem_id 0
		.amdhsa_next_free_vgpr 42
		.amdhsa_next_free_sgpr 34
		.amdhsa_reserve_vcc 1
		.amdhsa_float_round_mode_32 0
		.amdhsa_float_round_mode_16_64 0
		.amdhsa_float_denorm_mode_32 3
		.amdhsa_float_denorm_mode_16_64 3
		.amdhsa_dx10_clamp 1
		.amdhsa_ieee_mode 1
		.amdhsa_fp16_overflow 0
		.amdhsa_workgroup_processor_mode 1
		.amdhsa_memory_ordered 1
		.amdhsa_forward_progress 0
		.amdhsa_shared_vgpr_count 0
		.amdhsa_exception_fp_ieee_invalid_op 0
		.amdhsa_exception_fp_denorm_src 0
		.amdhsa_exception_fp_ieee_div_zero 0
		.amdhsa_exception_fp_ieee_overflow 0
		.amdhsa_exception_fp_ieee_underflow 0
		.amdhsa_exception_fp_ieee_inexact 0
		.amdhsa_exception_int_div_zero 0
	.end_amdhsa_kernel
	.text
.Lfunc_end88:
	.size	Transform_I32_S_100_16_16_VW_1, .Lfunc_end88-Transform_I32_S_100_16_16_VW_1
                                        ; -- End function
	.section	.AMDGPU.csdata,"",@progbits
; Kernel info:
; codeLenInByte = 764
; NumSgprs: 36
; NumVgprs: 42
; ScratchSize: 64
; MemoryBound: 0
; FloatMode: 240
; IeeeMode: 1
; LDSByteSize: 0 bytes/workgroup (compile time only)
; SGPRBlocks: 4
; VGPRBlocks: 5
; NumSGPRsForWavesPerEU: 36
; NumVGPRsForWavesPerEU: 42
; Occupancy: 16
; WaveLimiterHint : 1
; COMPUTE_PGM_RSRC2:SCRATCH_EN: 1
; COMPUTE_PGM_RSRC2:USER_SGPR: 14
; COMPUTE_PGM_RSRC2:TRAP_HANDLER: 0
; COMPUTE_PGM_RSRC2:TGID_X_EN: 1
; COMPUTE_PGM_RSRC2:TGID_Y_EN: 0
; COMPUTE_PGM_RSRC2:TGID_Z_EN: 1
; COMPUTE_PGM_RSRC2:TIDIG_COMP_CNT: 0
	.text
	.protected	Transform_I32_S_100_16_16_VW_4 ; -- Begin function Transform_I32_S_100_16_16_VW_4
	.globl	Transform_I32_S_100_16_16_VW_4
	.p2align	8
	.type	Transform_I32_S_100_16_16_VW_4,@function
Transform_I32_S_100_16_16_VW_4:         ; @Transform_I32_S_100_16_16_VW_4
; %bb.0:
	s_mov_b64 s[22:23], s[0:1]
	s_load_b32 s0, s[0:1], 0x64
	v_mov_b32_e32 v41, v0
	s_mov_b32 s24, s15
	s_mov_b32 s21, s14
	;; [unrolled: 1-line block ×3, first 2 shown]
	s_waitcnt lgkmcnt(0)
	v_cmp_eq_u16_e64 s0, 0x100, s0
	s_delay_alu instid0(VALU_DEP_1)
	s_and_b32 vcc_lo, exec_lo, s0
	s_mov_b32 s0, -1
	s_cbranch_vccnz .LBB89_2
; %bb.1:
	s_add_u32 s8, s22, 0x58
	s_addc_u32 s9, s23, 0
	s_getpc_b64 s[0:1]
	s_add_u32 s0, s0, __PRETTY_FUNCTION__._ZN10amd_detail9transformIifLb1ELb0ELb0ELj16ELj16ELj4EEEvPT_PKS1_S4_T0_PKS5_S5_S7_jjjjjjbb@rel32@lo+4
	s_addc_u32 s1, s1, __PRETTY_FUNCTION__._ZN10amd_detail9transformIifLb1ELb0ELb0ELj16ELj16ELj4EEEvPT_PKS1_S4_T0_PKS5_S5_S7_jjjjjjbb@rel32@hi+12
	s_delay_alu instid0(SALU_CYCLE_1) | instskip(SKIP_3) | instid1(SALU_CYCLE_1)
	v_dual_mov_b32 v0, s0 :: v_dual_mov_b32 v1, s1
	s_getpc_b64 s[2:3]
	s_add_u32 s2, s2, __assert_fail@rel32@lo+4
	s_addc_u32 s3, s3, __assert_fail@rel32@hi+12
	s_swappc_b64 s[30:31], s[2:3]
	; divergent unreachable
	s_mov_b32 s0, 0
.LBB89_2:
	s_delay_alu instid0(SALU_CYCLE_1)
	s_and_not1_b32 vcc_lo, exec_lo, s0
	s_cbranch_vccnz .LBB89_55
; %bb.3:
	s_load_b256 s[4:11], s[22:23], 0x38
	s_waitcnt lgkmcnt(0)
	s_and_b32 s0, s4, 63
	s_lshr_b32 s1, s4, 6
	s_cmp_lg_u32 s0, 0
	s_cselect_b32 s0, -1, 0
	s_delay_alu instid0(SALU_CYCLE_1) | instskip(SKIP_4) | instid1(VALU_DEP_1)
	s_cmp_lg_u32 s0, 0
	s_addc_u32 s2, s1, 0
	s_load_b64 s[0:1], s[22:23], 0x20
	v_cvt_f32_u32_e32 v0, s2
	s_sub_i32 s11, 0, s2
	v_rcp_iflag_f32_e32 v0, v0
	s_waitcnt_depctr 0xfff
	v_mul_f32_e32 v0, 0x4f7ffffe, v0
	s_delay_alu instid0(VALU_DEP_1) | instskip(NEXT) | instid1(VALU_DEP_1)
	v_cvt_u32_f32_e32 v0, v0
	v_readfirstlane_b32 s3, v0
	s_delay_alu instid0(VALU_DEP_1) | instskip(NEXT) | instid1(SALU_CYCLE_1)
	s_mul_i32 s11, s11, s3
	s_mul_hi_u32 s11, s3, s11
	s_delay_alu instid0(SALU_CYCLE_1)
	s_add_i32 s3, s3, s11
	s_waitcnt lgkmcnt(0)
	s_cmp_eq_u64 s[0:1], 0
	s_mul_hi_u32 s3, s21, s3
	s_cbranch_scc1 .LBB89_6
; %bb.4:
	s_load_b32 s11, s[0:1], 0x0
	s_load_b64 s[0:1], s[22:23], 0x30
	s_waitcnt lgkmcnt(0)
	s_cmp_eq_u64 s[0:1], 0
	s_cbranch_scc1 .LBB89_7
.LBB89_5:
	s_load_b32 s16, s[0:1], 0x0
	s_branch .LBB89_8
.LBB89_6:
	s_clause 0x1
	s_load_b32 s11, s[22:23], 0x18
	s_load_b64 s[0:1], s[22:23], 0x30
	s_waitcnt lgkmcnt(0)
	s_cmp_eq_u64 s[0:1], 0
	s_cbranch_scc0 .LBB89_5
.LBB89_7:
	s_load_b32 s16, s[22:23], 0x28
.LBB89_8:
	s_mul_i32 s0, s3, s2
	s_add_i32 s1, s3, 1
	s_sub_i32 s0, s21, s0
	v_lshrrev_b32_e32 v0, 4, v41
	s_sub_i32 s12, s0, s2
	s_cmp_ge_u32 s0, s2
	s_cselect_b32 s1, s1, s3
	s_cselect_b32 s0, s12, s0
	s_add_i32 s3, s1, 1
	s_cmp_ge_u32 s0, s2
	s_mov_b32 s0, exec_lo
	s_cselect_b32 s1, s3, s1
	s_delay_alu instid0(SALU_CYCLE_1) | instskip(NEXT) | instid1(VALU_DEP_1)
	v_lshl_add_u32 v0, s1, 4, v0
	v_cmpx_gt_u32_e64 s5, v0
	s_cbranch_execz .LBB89_55
; %bb.9:
	v_dual_mov_b32 v12, 0 :: v_dual_lshlrev_b32 v1, 2, v41
	s_mul_i32 s1, s1, s2
	s_clause 0x1
	s_load_b128 s[12:15], s[22:23], 0x0
	s_load_b64 s[2:3], s[22:23], 0x10
	v_dual_mov_b32 v11, 0 :: v_dual_and_b32 v8, 60, v1
	s_sub_i32 s0, s21, s1
	s_bitcmp1_b32 s10, 0
	s_mul_i32 s24, s24, s9
	s_delay_alu instid0(VALU_DEP_1) | instskip(SKIP_1) | instid1(VALU_DEP_1)
	v_lshl_or_b32 v7, s0, 6, v8
	s_cselect_b32 vcc_lo, -1, 0
	v_add_nc_u32_e32 v10, 4, v7
	s_delay_alu instid0(VALU_DEP_1) | instskip(SKIP_3) | instid1(VALU_DEP_1)
	v_sub_nc_u32_e64 v9, v10, s4 clamp
	s_waitcnt lgkmcnt(0)
	s_cmp_lg_u64 s[14:15], 0
	s_cselect_b32 s5, -1, 0
	v_sub_nc_u32_e32 v3, v7, v9
	s_cmp_eq_u64 s[14:15], 0
	s_delay_alu instid0(VALU_DEP_1)
	v_mad_u64_u32 v[1:2], null, v0, s6, v[3:4]
	s_cbranch_scc1 .LBB89_11
; %bb.10:
	s_delay_alu instid0(VALU_DEP_1) | instskip(NEXT) | instid1(VALU_DEP_1)
	v_mad_u64_u32 v[4:5], null, v3, s6, v[0:1]
	v_dual_mov_b32 v5, 0 :: v_dual_cndmask_b32 v2, v4, v1
	s_delay_alu instid0(VALU_DEP_1) | instskip(NEXT) | instid1(VALU_DEP_1)
	v_add_nc_u32_e32 v4, s24, v2
	v_lshlrev_b64 v[4:5], 2, v[4:5]
	s_delay_alu instid0(VALU_DEP_1) | instskip(NEXT) | instid1(VALU_DEP_1)
	v_add_co_u32 v4, s0, s14, v4
	v_add_co_ci_u32_e64 v5, s0, s15, v5, s0
	global_load_b32 v2, v[4:5], off
	s_waitcnt vmcnt(0)
	v_cvt_f32_i32_e32 v11, v2
.LBB89_11:
	s_load_b32 s0, s[22:23], 0x50
	v_mad_u64_u32 v[4:5], null, v0, s7, v[3:4]
	v_mul_lo_u32 v13, v3, s7
	s_xor_b32 s10, vcc_lo, -1
	s_waitcnt lgkmcnt(0)
	s_bitcmp1_b32 s0, 8
	s_cselect_b32 s0, -1, 0
	s_cmp_lg_u64 s[2:3], 0
	s_cselect_b32 s9, -1, 0
	s_cmp_eq_u64 s[2:3], 0
	s_cbranch_scc1 .LBB89_13
; %bb.12:
	v_add_nc_u32_e32 v2, v13, v0
	s_delay_alu instid0(VALU_DEP_1) | instskip(NEXT) | instid1(VALU_DEP_1)
	v_cndmask_b32_e64 v2, v4, v2, s0
	v_dual_mov_b32 v6, 0 :: v_dual_add_nc_u32 v5, s24, v2
	s_delay_alu instid0(VALU_DEP_1) | instskip(NEXT) | instid1(VALU_DEP_1)
	v_lshlrev_b64 v[5:6], 2, v[5:6]
	v_add_co_u32 v5, vcc_lo, s2, v5
	s_delay_alu instid0(VALU_DEP_2)
	v_add_co_ci_u32_e32 v6, vcc_lo, s3, v6, vcc_lo
	global_load_b32 v2, v[5:6], off
	s_waitcnt vmcnt(0)
	v_cvt_f32_i32_e32 v12, v2
.LBB89_13:
	v_cndmask_b32_e64 v2, 0, 1, s10
	s_and_not1_b32 vcc_lo, exec_lo, s10
	s_cbranch_vccnz .LBB89_15
; %bb.14:
	v_mul_lo_u32 v5, s6, v3
	s_delay_alu instid0(VALU_DEP_1)
	v_add3_u32 v5, v5, s6, v0
	s_xor_b32 s0, s0, -1
	s_cbranch_execz .LBB89_16
	s_branch .LBB89_17
.LBB89_15:
                                        ; implicit-def: $vgpr5
	s_xor_b32 s0, s0, -1
.LBB89_16:
	v_add_nc_u32_e32 v5, 1, v1
.LBB89_17:
	v_cndmask_b32_e64 v16, 0, 1, s0
	s_and_not1_b32 vcc_lo, exec_lo, s0
	s_cbranch_vccnz .LBB89_19
; %bb.18:
	v_add_nc_u32_e32 v6, 1, v4
	s_cbranch_execz .LBB89_20
	s_branch .LBB89_21
.LBB89_19:
                                        ; implicit-def: $vgpr6
.LBB89_20:
	v_add3_u32 v6, v13, s7, v0
.LBB89_21:
	v_cndmask_b32_e64 v17, 0, 1, s5
	v_dual_mov_b32 v15, 0 :: v_dual_mov_b32 v14, 0
	s_and_not1_b32 vcc_lo, exec_lo, s5
	s_cbranch_vccnz .LBB89_23
; %bb.22:
	v_dual_mov_b32 v19, 0 :: v_dual_add_nc_u32 v18, s24, v5
	s_delay_alu instid0(VALU_DEP_1) | instskip(NEXT) | instid1(VALU_DEP_1)
	v_lshlrev_b64 v[18:19], 2, v[18:19]
	v_add_co_u32 v18, vcc_lo, s14, v18
	s_delay_alu instid0(VALU_DEP_2)
	v_add_co_ci_u32_e32 v19, vcc_lo, s15, v19, vcc_lo
	global_load_b32 v5, v[18:19], off
	s_waitcnt vmcnt(0)
	v_cvt_f32_i32_e32 v14, v5
.LBB89_23:
	v_cndmask_b32_e64 v18, 0, 1, s9
	s_and_not1_b32 vcc_lo, exec_lo, s9
	s_cbranch_vccnz .LBB89_25
; %bb.24:
	v_dual_mov_b32 v6, 0 :: v_dual_add_nc_u32 v5, s24, v6
	s_delay_alu instid0(VALU_DEP_1) | instskip(NEXT) | instid1(VALU_DEP_1)
	v_lshlrev_b64 v[5:6], 2, v[5:6]
	v_add_co_u32 v5, vcc_lo, s2, v5
	s_delay_alu instid0(VALU_DEP_2)
	v_add_co_ci_u32_e32 v6, vcc_lo, s3, v6, vcc_lo
	global_load_b32 v5, v[5:6], off
	s_waitcnt vmcnt(0)
	v_cvt_f32_i32_e32 v15, v5
.LBB89_25:
	v_cmp_ne_u32_e32 vcc_lo, 1, v2
	s_cbranch_vccnz .LBB89_27
; %bb.26:
	v_add_nc_u32_e32 v19, 2, v3
	s_delay_alu instid0(VALU_DEP_1)
	v_mad_u64_u32 v[5:6], null, v19, s6, v[0:1]
	s_cbranch_execz .LBB89_28
	s_branch .LBB89_29
.LBB89_27:
                                        ; implicit-def: $vgpr5
.LBB89_28:
	v_add_nc_u32_e32 v5, 2, v1
.LBB89_29:
	v_cmp_ne_u32_e32 vcc_lo, 1, v16
	s_cbranch_vccnz .LBB89_31
; %bb.30:
	v_add_nc_u32_e32 v20, 2, v4
	s_cbranch_execz .LBB89_32
	s_branch .LBB89_33
.LBB89_31:
                                        ; implicit-def: $vgpr20
.LBB89_32:
	s_lshl_b32 s0, s7, 1
	s_delay_alu instid0(SALU_CYCLE_1)
	v_add3_u32 v20, v13, s0, v0
.LBB89_33:
	v_cmp_ne_u32_e32 vcc_lo, 1, v17
	v_dual_mov_b32 v19, 0 :: v_dual_mov_b32 v6, 0
	s_cbranch_vccnz .LBB89_35
; %bb.34:
	v_dual_mov_b32 v6, 0 :: v_dual_add_nc_u32 v5, s24, v5
	s_delay_alu instid0(VALU_DEP_1) | instskip(NEXT) | instid1(VALU_DEP_1)
	v_lshlrev_b64 v[5:6], 2, v[5:6]
	v_add_co_u32 v5, vcc_lo, s14, v5
	s_delay_alu instid0(VALU_DEP_2)
	v_add_co_ci_u32_e32 v6, vcc_lo, s15, v6, vcc_lo
	global_load_b32 v5, v[5:6], off
	s_waitcnt vmcnt(0)
	v_cvt_f32_i32_e32 v6, v5
.LBB89_35:
	v_cmp_ne_u32_e32 vcc_lo, 1, v18
	s_cbranch_vccnz .LBB89_37
; %bb.36:
	v_dual_mov_b32 v20, 0 :: v_dual_add_nc_u32 v19, s24, v20
	s_delay_alu instid0(VALU_DEP_1) | instskip(NEXT) | instid1(VALU_DEP_1)
	v_lshlrev_b64 v[19:20], 2, v[19:20]
	v_add_co_u32 v19, vcc_lo, s2, v19
	s_delay_alu instid0(VALU_DEP_2)
	v_add_co_ci_u32_e32 v20, vcc_lo, s3, v20, vcc_lo
	global_load_b32 v5, v[19:20], off
	s_waitcnt vmcnt(0)
	v_cvt_f32_i32_e32 v19, v5
.LBB89_37:
	v_cmp_ne_u32_e32 vcc_lo, 1, v2
	s_cbranch_vccnz .LBB89_39
; %bb.38:
	v_add_nc_u32_e32 v5, 3, v3
	s_delay_alu instid0(VALU_DEP_1)
	v_mad_u64_u32 v[2:3], null, v5, s6, v[0:1]
	s_cbranch_execz .LBB89_40
	s_branch .LBB89_41
.LBB89_39:
                                        ; implicit-def: $vgpr2
.LBB89_40:
	v_add_nc_u32_e32 v2, 3, v1
.LBB89_41:
	v_cmp_ne_u32_e32 vcc_lo, 1, v16
	s_cbranch_vccnz .LBB89_43
; %bb.42:
	v_add_nc_u32_e32 v1, 3, v4
	s_cbranch_execz .LBB89_44
	s_branch .LBB89_45
.LBB89_43:
                                        ; implicit-def: $vgpr1
.LBB89_44:
	s_mul_i32 s0, s7, 3
	s_delay_alu instid0(SALU_CYCLE_1)
	v_add3_u32 v1, v13, s0, v0
.LBB89_45:
	v_cmp_ne_u32_e32 vcc_lo, 1, v17
	v_dual_mov_b32 v4, 0 :: v_dual_mov_b32 v3, 0
	s_cbranch_vccnz .LBB89_47
; %bb.46:
	v_dual_mov_b32 v3, 0 :: v_dual_add_nc_u32 v2, s24, v2
	s_delay_alu instid0(VALU_DEP_1) | instskip(NEXT) | instid1(VALU_DEP_1)
	v_lshlrev_b64 v[2:3], 2, v[2:3]
	v_add_co_u32 v2, vcc_lo, s14, v2
	s_delay_alu instid0(VALU_DEP_2)
	v_add_co_ci_u32_e32 v3, vcc_lo, s15, v3, vcc_lo
	global_load_b32 v2, v[2:3], off
	s_waitcnt vmcnt(0)
	v_cvt_f32_i32_e32 v3, v2
.LBB89_47:
	v_cmp_ne_u32_e32 vcc_lo, 1, v18
	s_cbranch_vccnz .LBB89_49
; %bb.48:
	v_dual_mov_b32 v2, 0 :: v_dual_add_nc_u32 v1, s24, v1
	s_delay_alu instid0(VALU_DEP_1) | instskip(NEXT) | instid1(VALU_DEP_1)
	v_lshlrev_b64 v[1:2], 2, v[1:2]
	v_add_co_u32 v1, vcc_lo, s2, v1
	s_delay_alu instid0(VALU_DEP_2)
	v_add_co_ci_u32_e32 v2, vcc_lo, s3, v2, vcc_lo
	global_load_b32 v1, v[1:2], off
	s_waitcnt vmcnt(0)
	v_cvt_f32_i32_e32 v4, v1
.LBB89_49:
	v_dual_mul_f32 v1, s16, v12 :: v_dual_mul_f32 v2, s16, v15
	s_delay_alu instid0(VALU_DEP_2) | instskip(SKIP_1) | instid1(VALU_DEP_3)
	v_dual_mul_f32 v5, s16, v19 :: v_dual_mul_f32 v4, s16, v4
	v_mul_lo_u32 v12, v0, s8
	v_dual_fmac_f32 v1, s11, v11 :: v_dual_fmac_f32 v2, s11, v14
	s_delay_alu instid0(VALU_DEP_3) | instskip(SKIP_1) | instid1(VALU_DEP_2)
	v_dual_fmac_f32 v5, s11, v6 :: v_dual_fmac_f32 v4, s11, v3
	s_mov_b32 s0, exec_lo
	v_cvt_i32_f32_e32 v11, v1
	s_delay_alu instid0(VALU_DEP_3) | instskip(NEXT) | instid1(VALU_DEP_3)
	v_cvt_i32_f32_e32 v1, v2
	v_cvt_i32_f32_e32 v6, v5
	;; [unrolled: 1-line block ×3, first 2 shown]
	v_cmpx_ge_u32_e64 s4, v10
	s_xor_b32 s0, exec_lo, s0
	s_cbranch_execz .LBB89_51
; %bb.50:
	v_dual_mov_b32 v3, 0 :: v_dual_add_nc_u32 v0, s24, v7
	s_delay_alu instid0(VALU_DEP_1) | instskip(NEXT) | instid1(VALU_DEP_1)
	v_sub_nc_u32_e32 v0, v0, v9
	v_add_nc_u32_e32 v2, v0, v12
	s_delay_alu instid0(VALU_DEP_3) | instskip(NEXT) | instid1(VALU_DEP_2)
	v_mov_b32_e32 v8, v3
	v_dual_mov_b32 v10, v3 :: v_dual_add_nc_u32 v9, 2, v2
	v_add_nc_u32_e32 v7, 1, v2
	v_lshlrev_b64 v[12:13], 2, v[2:3]
	v_add_nc_u32_e32 v2, 3, v2
	s_delay_alu instid0(VALU_DEP_4) | instskip(NEXT) | instid1(VALU_DEP_4)
	v_lshlrev_b64 v[9:10], 2, v[9:10]
	v_lshlrev_b64 v[7:8], 2, v[7:8]
	s_delay_alu instid0(VALU_DEP_4) | instskip(SKIP_2) | instid1(VALU_DEP_4)
	v_add_co_u32 v12, vcc_lo, s12, v12
	v_add_co_ci_u32_e32 v13, vcc_lo, s13, v13, vcc_lo
	v_lshlrev_b64 v[2:3], 2, v[2:3]
	v_add_co_u32 v7, vcc_lo, s12, v7
	v_add_co_ci_u32_e32 v8, vcc_lo, s13, v8, vcc_lo
	v_add_co_u32 v9, vcc_lo, s12, v9
	v_add_co_ci_u32_e32 v10, vcc_lo, s13, v10, vcc_lo
	;; [unrolled: 2-line block ×3, first 2 shown]
	s_clause 0x3
	global_store_b32 v[12:13], v11, off
	global_store_b32 v[7:8], v1, off
	;; [unrolled: 1-line block ×4, first 2 shown]
                                        ; implicit-def: $vgpr0_vgpr1_vgpr2_vgpr3
                                        ; implicit-def: $vgpr4_vgpr5_vgpr6_vgpr7
                                        ; implicit-def: $vgpr9
                                        ; implicit-def: $vgpr11
                                        ; implicit-def: $vgpr8
                                        ; implicit-def: $vgpr12
                                        ; implicit-def: $vgpr2_vgpr3_vgpr4_vgpr5
.LBB89_51:
	s_and_not1_saveexec_b32 s0, s0
	s_cbranch_execz .LBB89_55
; %bb.52:
	v_cmp_gt_u32_e32 vcc_lo, 4, v9
	s_and_b32 exec_lo, exec_lo, vcc_lo
	s_cbranch_execz .LBB89_55
; %bb.53:
	v_lshl_or_b32 v0, s21, 6, v8
	s_lshl_b32 s0, s1, 6
	s_mov_b32 s1, 0
	s_delay_alu instid0(VALU_DEP_1) | instskip(SKIP_1) | instid1(VALU_DEP_2)
	v_subrev_nc_u32_e32 v2, s0, v0
	v_add3_u32 v0, s24, v12, v0
	v_add_nc_u32_e32 v3, 4, v2
	s_delay_alu instid0(VALU_DEP_1) | instskip(NEXT) | instid1(VALU_DEP_1)
	v_min_u32_e32 v3, s4, v3
	v_sub_nc_u32_e32 v3, v2, v3
	s_delay_alu instid0(VALU_DEP_4) | instskip(NEXT) | instid1(VALU_DEP_2)
	v_subrev_nc_u32_e32 v2, s0, v0
	v_dual_mov_b32 v3, 0 :: v_dual_add_nc_u32 v0, 3, v3
	.p2align	6
.LBB89_54:                              ; =>This Inner Loop Header: Depth=1
	s_delay_alu instid0(VALU_DEP_1) | instskip(NEXT) | instid1(VALU_DEP_2)
	v_add_nc_u32_e32 v0, 1, v0
	v_lshlrev_b64 v[7:8], 2, v[2:3]
	v_add_nc_u32_e32 v2, 1, v2
	s_delay_alu instid0(VALU_DEP_3) | instskip(SKIP_3) | instid1(VALU_DEP_2)
	v_cmp_eq_u32_e32 vcc_lo, 1, v0
	v_cmp_eq_u32_e64 s0, 2, v0
	v_cndmask_b32_e32 v4, v11, v1, vcc_lo
	v_cmp_lt_u32_e32 vcc_lo, 2, v0
	v_cndmask_b32_e64 v4, v4, v6, s0
	v_add_co_u32 v7, s0, s12, v7
	s_delay_alu instid0(VALU_DEP_1) | instskip(SKIP_2) | instid1(VALU_DEP_1)
	v_add_co_ci_u32_e64 v8, s0, s13, v8, s0
	v_cmp_eq_u32_e64 s0, 3, v0
	s_or_b32 s1, vcc_lo, s1
	v_cndmask_b32_e64 v4, v4, v5, s0
	global_store_b32 v[7:8], v4, off
	s_and_not1_b32 exec_lo, exec_lo, s1
	s_cbranch_execnz .LBB89_54
.LBB89_55:
	s_endpgm
	.section	.rodata,"a",@progbits
	.p2align	6, 0x0
	.amdhsa_kernel Transform_I32_S_100_16_16_VW_4
		.amdhsa_group_segment_fixed_size 0
		.amdhsa_private_segment_fixed_size 64
		.amdhsa_kernarg_size 344
		.amdhsa_user_sgpr_count 14
		.amdhsa_user_sgpr_dispatch_ptr 0
		.amdhsa_user_sgpr_queue_ptr 0
		.amdhsa_user_sgpr_kernarg_segment_ptr 1
		.amdhsa_user_sgpr_dispatch_id 0
		.amdhsa_user_sgpr_private_segment_size 0
		.amdhsa_wavefront_size32 1
		.amdhsa_uses_dynamic_stack 0
		.amdhsa_enable_private_segment 1
		.amdhsa_system_sgpr_workgroup_id_x 1
		.amdhsa_system_sgpr_workgroup_id_y 0
		.amdhsa_system_sgpr_workgroup_id_z 1
		.amdhsa_system_sgpr_workgroup_info 0
		.amdhsa_system_vgpr_workitem_id 0
		.amdhsa_next_free_vgpr 42
		.amdhsa_next_free_sgpr 34
		.amdhsa_reserve_vcc 1
		.amdhsa_float_round_mode_32 0
		.amdhsa_float_round_mode_16_64 0
		.amdhsa_float_denorm_mode_32 3
		.amdhsa_float_denorm_mode_16_64 3
		.amdhsa_dx10_clamp 1
		.amdhsa_ieee_mode 1
		.amdhsa_fp16_overflow 0
		.amdhsa_workgroup_processor_mode 1
		.amdhsa_memory_ordered 1
		.amdhsa_forward_progress 0
		.amdhsa_shared_vgpr_count 0
		.amdhsa_exception_fp_ieee_invalid_op 0
		.amdhsa_exception_fp_denorm_src 0
		.amdhsa_exception_fp_ieee_div_zero 0
		.amdhsa_exception_fp_ieee_overflow 0
		.amdhsa_exception_fp_ieee_underflow 0
		.amdhsa_exception_fp_ieee_inexact 0
		.amdhsa_exception_int_div_zero 0
	.end_amdhsa_kernel
	.text
.Lfunc_end89:
	.size	Transform_I32_S_100_16_16_VW_4, .Lfunc_end89-Transform_I32_S_100_16_16_VW_4
                                        ; -- End function
	.section	.AMDGPU.csdata,"",@progbits
; Kernel info:
; codeLenInByte = 1820
; NumSgprs: 36
; NumVgprs: 42
; ScratchSize: 64
; MemoryBound: 0
; FloatMode: 240
; IeeeMode: 1
; LDSByteSize: 0 bytes/workgroup (compile time only)
; SGPRBlocks: 4
; VGPRBlocks: 5
; NumSGPRsForWavesPerEU: 36
; NumVGPRsForWavesPerEU: 42
; Occupancy: 16
; WaveLimiterHint : 1
; COMPUTE_PGM_RSRC2:SCRATCH_EN: 1
; COMPUTE_PGM_RSRC2:USER_SGPR: 14
; COMPUTE_PGM_RSRC2:TRAP_HANDLER: 0
; COMPUTE_PGM_RSRC2:TGID_X_EN: 1
; COMPUTE_PGM_RSRC2:TGID_Y_EN: 0
; COMPUTE_PGM_RSRC2:TGID_Z_EN: 1
; COMPUTE_PGM_RSRC2:TIDIG_COMP_CNT: 0
	.text
	.protected	Transform_I32_S_011_16_16_VW_1 ; -- Begin function Transform_I32_S_011_16_16_VW_1
	.globl	Transform_I32_S_011_16_16_VW_1
	.p2align	8
	.type	Transform_I32_S_011_16_16_VW_1,@function
Transform_I32_S_011_16_16_VW_1:         ; @Transform_I32_S_011_16_16_VW_1
; %bb.0:
	s_mov_b64 s[22:23], s[0:1]
	s_load_b32 s0, s[0:1], 0x64
	v_mov_b32_e32 v41, v0
	s_mov_b32 s21, s15
	s_mov_b32 s24, s14
	;; [unrolled: 1-line block ×3, first 2 shown]
	s_waitcnt lgkmcnt(0)
	v_cmp_eq_u16_e64 s0, 0x100, s0
	s_delay_alu instid0(VALU_DEP_1)
	s_and_b32 vcc_lo, exec_lo, s0
	s_mov_b32 s0, -1
	s_cbranch_vccnz .LBB90_2
; %bb.1:
	s_add_u32 s8, s22, 0x58
	s_addc_u32 s9, s23, 0
	s_getpc_b64 s[0:1]
	s_add_u32 s0, s0, __PRETTY_FUNCTION__._ZN10amd_detail9transformIifLb0ELb1ELb1ELj16ELj16ELj1EEEvPT_PKS1_S4_T0_PKS5_S5_S7_jjjjjjbb@rel32@lo+4
	s_addc_u32 s1, s1, __PRETTY_FUNCTION__._ZN10amd_detail9transformIifLb0ELb1ELb1ELj16ELj16ELj1EEEvPT_PKS1_S4_T0_PKS5_S5_S7_jjjjjjbb@rel32@hi+12
	s_delay_alu instid0(SALU_CYCLE_1) | instskip(SKIP_3) | instid1(SALU_CYCLE_1)
	v_dual_mov_b32 v0, s0 :: v_dual_mov_b32 v1, s1
	s_getpc_b64 s[2:3]
	s_add_u32 s2, s2, __assert_fail@rel32@lo+4
	s_addc_u32 s3, s3, __assert_fail@rel32@hi+12
	s_swappc_b64 s[30:31], s[2:3]
	; divergent unreachable
	s_mov_b32 s0, 0
.LBB90_2:
	s_delay_alu instid0(SALU_CYCLE_1)
	s_and_not1_b32 vcc_lo, exec_lo, s0
	s_cbranch_vccnz .LBB90_14
; %bb.3:
	s_load_b256 s[0:7], s[22:23], 0x38
	s_waitcnt lgkmcnt(0)
	s_and_b32 s7, s0, 15
	s_lshr_b32 s8, s0, 4
	s_cmp_lg_u32 s7, 0
	s_cselect_b32 s7, -1, 0
	s_delay_alu instid0(SALU_CYCLE_1) | instskip(SKIP_4) | instid1(VALU_DEP_1)
	s_cmp_lg_u32 s7, 0
	s_addc_u32 s10, s8, 0
	s_load_b64 s[8:9], s[22:23], 0x20
	v_cvt_f32_u32_e32 v0, s10
	s_sub_i32 s11, 0, s10
	v_rcp_iflag_f32_e32 v0, v0
	s_waitcnt_depctr 0xfff
	v_mul_f32_e32 v0, 0x4f7ffffe, v0
	s_delay_alu instid0(VALU_DEP_1) | instskip(NEXT) | instid1(VALU_DEP_1)
	v_cvt_u32_f32_e32 v0, v0
	v_readfirstlane_b32 s7, v0
	s_delay_alu instid0(VALU_DEP_1) | instskip(NEXT) | instid1(SALU_CYCLE_1)
	s_mul_i32 s11, s11, s7
	s_mul_hi_u32 s11, s7, s11
	s_delay_alu instid0(SALU_CYCLE_1)
	s_add_i32 s7, s7, s11
	s_waitcnt lgkmcnt(0)
	s_cmp_eq_u64 s[8:9], 0
	s_mul_hi_u32 s11, s24, s7
	s_cbranch_scc1 .LBB90_6
; %bb.4:
	s_load_b32 s7, s[8:9], 0x0
	s_load_b64 s[8:9], s[22:23], 0x30
	s_waitcnt lgkmcnt(0)
	s_cmp_eq_u64 s[8:9], 0
	s_cbranch_scc1 .LBB90_7
.LBB90_5:
	s_load_b32 s12, s[8:9], 0x0
	s_branch .LBB90_8
.LBB90_6:
	s_clause 0x1
	s_load_b32 s7, s[22:23], 0x18
	s_load_b64 s[8:9], s[22:23], 0x30
	s_waitcnt lgkmcnt(0)
	s_cmp_eq_u64 s[8:9], 0
	s_cbranch_scc0 .LBB90_5
.LBB90_7:
	s_load_b32 s12, s[22:23], 0x28
.LBB90_8:
	s_mul_i32 s8, s11, s10
	s_add_i32 s9, s11, 1
	s_sub_i32 s8, s24, s8
	v_and_b32_e32 v0, 15, v41
	s_sub_i32 s13, s8, s10
	s_cmp_ge_u32 s8, s10
	v_lshrrev_b32_e32 v2, 4, v41
	s_cselect_b32 s9, s9, s11
	s_cselect_b32 s8, s13, s8
	s_add_i32 s11, s9, 1
	s_cmp_ge_u32 s8, s10
	s_cselect_b32 s8, s11, s9
	s_delay_alu instid0(SALU_CYCLE_1) | instskip(NEXT) | instid1(SALU_CYCLE_1)
	s_mul_i32 s9, s8, s10
	s_sub_i32 s9, s24, s9
	s_delay_alu instid0(SALU_CYCLE_1) | instskip(SKIP_1) | instid1(VALU_DEP_2)
	v_lshl_or_b32 v1, s9, 4, v0
	v_lshl_add_u32 v0, s8, 4, v2
	v_cmp_gt_u32_e32 vcc_lo, s0, v1
	s_delay_alu instid0(VALU_DEP_2) | instskip(NEXT) | instid1(VALU_DEP_1)
	v_cmp_gt_u32_e64 s0, s1, v0
	s_and_b32 s0, vcc_lo, s0
	s_delay_alu instid0(SALU_CYCLE_1)
	s_and_saveexec_b32 s1, s0
	s_cbranch_execz .LBB90_14
; %bb.9:
	s_clause 0x1
	s_load_b128 s[8:11], s[22:23], 0x0
	s_load_b64 s[0:1], s[22:23], 0x10
	v_dual_mov_b32 v3, 0 :: v_dual_mov_b32 v2, 0
	s_mul_i32 s21, s21, s5
	s_waitcnt lgkmcnt(0)
	s_cmp_eq_u64 s[10:11], 0
	s_cbranch_scc1 .LBB90_11
; %bb.10:
	s_bitcmp1_b32 s6, 0
	v_mov_b32_e32 v5, 0
	s_cselect_b32 vcc_lo, -1, 0
	v_cndmask_b32_e32 v2, v0, v1, vcc_lo
	v_cndmask_b32_e32 v4, v1, v0, vcc_lo
	s_delay_alu instid0(VALU_DEP_2) | instskip(NEXT) | instid1(VALU_DEP_1)
	v_mul_lo_u32 v2, v2, s2
	v_add3_u32 v4, v4, s21, v2
	s_delay_alu instid0(VALU_DEP_1) | instskip(NEXT) | instid1(VALU_DEP_1)
	v_lshlrev_b64 v[4:5], 2, v[4:5]
	v_add_co_u32 v4, vcc_lo, s10, v4
	s_delay_alu instid0(VALU_DEP_2)
	v_add_co_ci_u32_e32 v5, vcc_lo, s11, v5, vcc_lo
	global_load_b32 v2, v[4:5], off
	s_waitcnt vmcnt(0)
	v_cvt_f32_i32_e32 v2, v2
.LBB90_11:
	s_cmp_eq_u64 s[0:1], 0
	s_cbranch_scc1 .LBB90_13
; %bb.12:
	s_load_b32 s2, s[22:23], 0x50
	v_mov_b32_e32 v4, 0
	s_waitcnt lgkmcnt(0)
	s_bitcmp1_b32 s2, 8
	s_cselect_b32 vcc_lo, -1, 0
	v_cndmask_b32_e32 v3, v1, v0, vcc_lo
	v_cndmask_b32_e32 v5, v0, v1, vcc_lo
	s_delay_alu instid0(VALU_DEP_2) | instskip(NEXT) | instid1(VALU_DEP_1)
	v_mul_lo_u32 v3, v3, s3
	v_add3_u32 v3, v5, s21, v3
	s_delay_alu instid0(VALU_DEP_1) | instskip(NEXT) | instid1(VALU_DEP_1)
	v_lshlrev_b64 v[3:4], 2, v[3:4]
	v_add_co_u32 v3, vcc_lo, s0, v3
	s_delay_alu instid0(VALU_DEP_2)
	v_add_co_ci_u32_e32 v4, vcc_lo, s1, v4, vcc_lo
	global_load_b32 v3, v[3:4], off
	s_waitcnt vmcnt(0)
	v_cvt_f32_i32_e32 v3, v3
.LBB90_13:
	v_mul_lo_u32 v4, v1, s4
	v_mov_b32_e32 v1, 0
	s_delay_alu instid0(VALU_DEP_3) | instskip(NEXT) | instid1(VALU_DEP_1)
	v_mul_f32_e32 v3, s12, v3
	v_fmac_f32_e32 v3, s7, v2
	s_delay_alu instid0(VALU_DEP_4) | instskip(NEXT) | instid1(VALU_DEP_2)
	v_add3_u32 v0, v0, s21, v4
	v_cvt_i32_f32_e32 v2, v3
	s_delay_alu instid0(VALU_DEP_2) | instskip(NEXT) | instid1(VALU_DEP_1)
	v_lshlrev_b64 v[0:1], 2, v[0:1]
	v_add_co_u32 v0, vcc_lo, s8, v0
	s_delay_alu instid0(VALU_DEP_2)
	v_add_co_ci_u32_e32 v1, vcc_lo, s9, v1, vcc_lo
	global_store_b32 v[0:1], v2, off
.LBB90_14:
	s_endpgm
	.section	.rodata,"a",@progbits
	.p2align	6, 0x0
	.amdhsa_kernel Transform_I32_S_011_16_16_VW_1
		.amdhsa_group_segment_fixed_size 0
		.amdhsa_private_segment_fixed_size 64
		.amdhsa_kernarg_size 344
		.amdhsa_user_sgpr_count 14
		.amdhsa_user_sgpr_dispatch_ptr 0
		.amdhsa_user_sgpr_queue_ptr 0
		.amdhsa_user_sgpr_kernarg_segment_ptr 1
		.amdhsa_user_sgpr_dispatch_id 0
		.amdhsa_user_sgpr_private_segment_size 0
		.amdhsa_wavefront_size32 1
		.amdhsa_uses_dynamic_stack 0
		.amdhsa_enable_private_segment 1
		.amdhsa_system_sgpr_workgroup_id_x 1
		.amdhsa_system_sgpr_workgroup_id_y 0
		.amdhsa_system_sgpr_workgroup_id_z 1
		.amdhsa_system_sgpr_workgroup_info 0
		.amdhsa_system_vgpr_workitem_id 0
		.amdhsa_next_free_vgpr 42
		.amdhsa_next_free_sgpr 34
		.amdhsa_reserve_vcc 1
		.amdhsa_float_round_mode_32 0
		.amdhsa_float_round_mode_16_64 0
		.amdhsa_float_denorm_mode_32 3
		.amdhsa_float_denorm_mode_16_64 3
		.amdhsa_dx10_clamp 1
		.amdhsa_ieee_mode 1
		.amdhsa_fp16_overflow 0
		.amdhsa_workgroup_processor_mode 1
		.amdhsa_memory_ordered 1
		.amdhsa_forward_progress 0
		.amdhsa_shared_vgpr_count 0
		.amdhsa_exception_fp_ieee_invalid_op 0
		.amdhsa_exception_fp_denorm_src 0
		.amdhsa_exception_fp_ieee_div_zero 0
		.amdhsa_exception_fp_ieee_overflow 0
		.amdhsa_exception_fp_ieee_underflow 0
		.amdhsa_exception_fp_ieee_inexact 0
		.amdhsa_exception_int_div_zero 0
	.end_amdhsa_kernel
	.text
.Lfunc_end90:
	.size	Transform_I32_S_011_16_16_VW_1, .Lfunc_end90-Transform_I32_S_011_16_16_VW_1
                                        ; -- End function
	.section	.AMDGPU.csdata,"",@progbits
; Kernel info:
; codeLenInByte = 768
; NumSgprs: 36
; NumVgprs: 42
; ScratchSize: 64
; MemoryBound: 0
; FloatMode: 240
; IeeeMode: 1
; LDSByteSize: 0 bytes/workgroup (compile time only)
; SGPRBlocks: 4
; VGPRBlocks: 5
; NumSGPRsForWavesPerEU: 36
; NumVGPRsForWavesPerEU: 42
; Occupancy: 16
; WaveLimiterHint : 1
; COMPUTE_PGM_RSRC2:SCRATCH_EN: 1
; COMPUTE_PGM_RSRC2:USER_SGPR: 14
; COMPUTE_PGM_RSRC2:TRAP_HANDLER: 0
; COMPUTE_PGM_RSRC2:TGID_X_EN: 1
; COMPUTE_PGM_RSRC2:TGID_Y_EN: 0
; COMPUTE_PGM_RSRC2:TGID_Z_EN: 1
; COMPUTE_PGM_RSRC2:TIDIG_COMP_CNT: 0
	.text
	.protected	Transform_I32_S_011_16_16_VW_4 ; -- Begin function Transform_I32_S_011_16_16_VW_4
	.globl	Transform_I32_S_011_16_16_VW_4
	.p2align	8
	.type	Transform_I32_S_011_16_16_VW_4,@function
Transform_I32_S_011_16_16_VW_4:         ; @Transform_I32_S_011_16_16_VW_4
; %bb.0:
	s_mov_b64 s[22:23], s[0:1]
	s_load_b32 s0, s[0:1], 0x64
	v_mov_b32_e32 v41, v0
	s_mov_b32 s24, s15
	s_mov_b32 s21, s14
	;; [unrolled: 1-line block ×3, first 2 shown]
	s_waitcnt lgkmcnt(0)
	v_cmp_eq_u16_e64 s0, 0x100, s0
	s_delay_alu instid0(VALU_DEP_1)
	s_and_b32 vcc_lo, exec_lo, s0
	s_mov_b32 s0, -1
	s_cbranch_vccnz .LBB91_2
; %bb.1:
	s_add_u32 s8, s22, 0x58
	s_addc_u32 s9, s23, 0
	s_getpc_b64 s[0:1]
	s_add_u32 s0, s0, __PRETTY_FUNCTION__._ZN10amd_detail9transformIifLb0ELb1ELb1ELj16ELj16ELj4EEEvPT_PKS1_S4_T0_PKS5_S5_S7_jjjjjjbb@rel32@lo+4
	s_addc_u32 s1, s1, __PRETTY_FUNCTION__._ZN10amd_detail9transformIifLb0ELb1ELb1ELj16ELj16ELj4EEEvPT_PKS1_S4_T0_PKS5_S5_S7_jjjjjjbb@rel32@hi+12
	s_delay_alu instid0(SALU_CYCLE_1) | instskip(SKIP_3) | instid1(SALU_CYCLE_1)
	v_dual_mov_b32 v0, s0 :: v_dual_mov_b32 v1, s1
	s_getpc_b64 s[2:3]
	s_add_u32 s2, s2, __assert_fail@rel32@lo+4
	s_addc_u32 s3, s3, __assert_fail@rel32@hi+12
	s_swappc_b64 s[30:31], s[2:3]
	; divergent unreachable
	s_mov_b32 s0, 0
.LBB91_2:
	s_delay_alu instid0(SALU_CYCLE_1)
	s_and_not1_b32 vcc_lo, exec_lo, s0
	s_cbranch_vccnz .LBB91_55
; %bb.3:
	s_load_b128 s[0:3], s[22:23], 0x38
	s_waitcnt lgkmcnt(0)
	s_and_b32 s4, s0, 15
	s_lshr_b32 s5, s0, 4
	s_cmp_lg_u32 s4, 0
	s_cselect_b32 s4, -1, 0
	s_delay_alu instid0(SALU_CYCLE_1) | instskip(SKIP_4) | instid1(VALU_DEP_1)
	s_cmp_lg_u32 s4, 0
	s_addc_u32 s6, s5, 0
	s_load_b64 s[4:5], s[22:23], 0x20
	v_cvt_f32_u32_e32 v0, s6
	s_sub_i32 s8, 0, s6
	v_rcp_iflag_f32_e32 v0, v0
	s_waitcnt_depctr 0xfff
	v_mul_f32_e32 v0, 0x4f7ffffe, v0
	s_delay_alu instid0(VALU_DEP_1) | instskip(NEXT) | instid1(VALU_DEP_1)
	v_cvt_u32_f32_e32 v0, v0
	v_readfirstlane_b32 s7, v0
	s_delay_alu instid0(VALU_DEP_1) | instskip(NEXT) | instid1(SALU_CYCLE_1)
	s_mul_i32 s8, s8, s7
	s_mul_hi_u32 s8, s7, s8
	s_delay_alu instid0(SALU_CYCLE_1)
	s_add_i32 s7, s7, s8
	s_waitcnt lgkmcnt(0)
	s_cmp_eq_u64 s[4:5], 0
	s_mul_hi_u32 s7, s21, s7
	s_cbranch_scc1 .LBB91_6
; %bb.4:
	s_load_b32 s15, s[4:5], 0x0
	s_load_b64 s[4:5], s[22:23], 0x30
	s_waitcnt lgkmcnt(0)
	s_cmp_eq_u64 s[4:5], 0
	s_cbranch_scc1 .LBB91_7
.LBB91_5:
	s_load_b32 s16, s[4:5], 0x0
	s_branch .LBB91_8
.LBB91_6:
	s_clause 0x1
	s_load_b32 s15, s[22:23], 0x18
	s_load_b64 s[4:5], s[22:23], 0x30
	s_waitcnt lgkmcnt(0)
	s_cmp_eq_u64 s[4:5], 0
	s_cbranch_scc0 .LBB91_5
.LBB91_7:
	s_load_b32 s16, s[22:23], 0x28
.LBB91_8:
	s_mul_i32 s4, s7, s6
	s_add_i32 s5, s7, 1
	s_sub_i32 s4, s21, s4
	v_and_b32_e32 v9, 15, v41
	s_sub_i32 s8, s4, s6
	s_cmp_ge_u32 s4, s6
	s_cselect_b32 s5, s5, s7
	s_cselect_b32 s4, s8, s4
	s_add_i32 s7, s5, 1
	s_cmp_ge_u32 s4, s6
	s_cselect_b32 s12, s7, s5
	s_delay_alu instid0(SALU_CYCLE_1) | instskip(NEXT) | instid1(SALU_CYCLE_1)
	s_mul_i32 s14, s12, s6
	s_sub_i32 s4, s21, s14
	s_delay_alu instid0(SALU_CYCLE_1) | instskip(NEXT) | instid1(VALU_DEP_1)
	v_lshl_or_b32 v0, s4, 4, v9
	v_cmp_gt_u32_e32 vcc_lo, s0, v0
	s_and_saveexec_b32 s0, vcc_lo
	s_cbranch_execz .LBB91_55
; %bb.9:
	v_lshrrev_b32_e32 v1, 2, v41
	s_clause 0x1
	s_load_b128 s[8:11], s[22:23], 0x48
	s_load_b128 s[4:7], s[22:23], 0x0
	s_waitcnt lgkmcnt(0)
	s_lshl_b32 s11, s12, 6
	s_load_b64 s[12:13], s[22:23], 0x10
	v_dual_mov_b32 v3, 0 :: v_dual_and_b32 v10, 0xfc, v1
	v_mov_b32_e32 v4, 0
	s_delay_alu instid0(VALU_DEP_2) | instskip(NEXT) | instid1(VALU_DEP_1)
	v_add_nc_u32_e32 v8, s11, v10
	v_add_nc_u32_e32 v11, 4, v8
	v_mad_u64_u32 v[1:2], null, v0, s2, v[8:9]
	s_bitcmp1_b32 s10, 0
	s_delay_alu instid0(VALU_DEP_2)
	v_sub_nc_u32_e64 v12, v11, s1 clamp
	s_cselect_b32 vcc_lo, -1, 0
	s_cmp_lg_u64 s[6:7], 0
	s_mul_i32 s24, s24, s9
	s_cselect_b32 s10, -1, 0
	v_sub_nc_u32_e32 v7, v8, v12
	v_sub_nc_u32_e32 v5, v1, v12
	s_cmp_eq_u64 s[6:7], 0
	s_cbranch_scc1 .LBB91_11
; %bb.10:
	s_delay_alu instid0(VALU_DEP_2) | instskip(NEXT) | instid1(VALU_DEP_1)
	v_mad_u64_u32 v[1:2], null, v7, s2, v[0:1]
	v_dual_mov_b32 v2, 0 :: v_dual_cndmask_b32 v1, v1, v5
	s_delay_alu instid0(VALU_DEP_1) | instskip(NEXT) | instid1(VALU_DEP_1)
	v_add_nc_u32_e32 v1, s24, v1
	v_lshlrev_b64 v[1:2], 2, v[1:2]
	s_delay_alu instid0(VALU_DEP_1) | instskip(NEXT) | instid1(VALU_DEP_1)
	v_add_co_u32 v1, s0, s6, v1
	v_add_co_ci_u32_e64 v2, s0, s7, v2, s0
	global_load_b32 v1, v[1:2], off
	s_waitcnt vmcnt(0)
	v_cvt_f32_i32_e32 v3, v1
.LBB91_11:
	s_load_b32 s0, s[22:23], 0x50
	v_mad_u64_u32 v[1:2], null, v0, s3, v[8:9]
	v_mul_lo_u32 v6, v7, s3
	s_xor_b32 s17, vcc_lo, -1
	s_delay_alu instid0(VALU_DEP_2)
	v_sub_nc_u32_e32 v13, v1, v12
	s_waitcnt lgkmcnt(0)
	s_bitcmp1_b32 s0, 8
	s_cselect_b32 s0, -1, 0
	s_cmp_lg_u64 s[12:13], 0
	s_cselect_b32 s9, -1, 0
	s_cmp_eq_u64 s[12:13], 0
	s_cbranch_scc1 .LBB91_13
; %bb.12:
	v_dual_mov_b32 v2, 0 :: v_dual_add_nc_u32 v1, v6, v0
	s_delay_alu instid0(VALU_DEP_1) | instskip(NEXT) | instid1(VALU_DEP_1)
	v_cndmask_b32_e64 v1, v13, v1, s0
	v_add_nc_u32_e32 v1, s24, v1
	s_delay_alu instid0(VALU_DEP_1) | instskip(NEXT) | instid1(VALU_DEP_1)
	v_lshlrev_b64 v[1:2], 2, v[1:2]
	v_add_co_u32 v1, vcc_lo, s12, v1
	s_delay_alu instid0(VALU_DEP_2)
	v_add_co_ci_u32_e32 v2, vcc_lo, s13, v2, vcc_lo
	global_load_b32 v1, v[1:2], off
	s_waitcnt vmcnt(0)
	v_cvt_f32_i32_e32 v4, v1
.LBB91_13:
	v_cndmask_b32_e64 v16, 0, 1, s17
	s_and_not1_b32 vcc_lo, exec_lo, s17
	s_cbranch_vccnz .LBB91_15
; %bb.14:
	v_mul_lo_u32 v1, s2, v7
	s_delay_alu instid0(VALU_DEP_1)
	v_add3_u32 v1, v1, s2, v0
	s_xor_b32 s0, s0, -1
	s_cbranch_execz .LBB91_16
	s_branch .LBB91_17
.LBB91_15:
                                        ; implicit-def: $vgpr1
	s_xor_b32 s0, s0, -1
.LBB91_16:
	v_add_nc_u32_e32 v1, 1, v5
.LBB91_17:
	v_cndmask_b32_e64 v17, 0, 1, s0
	s_and_not1_b32 vcc_lo, exec_lo, s0
	s_cbranch_vccnz .LBB91_19
; %bb.18:
	v_add_nc_u32_e32 v2, 1, v13
	s_cbranch_execz .LBB91_20
	s_branch .LBB91_21
.LBB91_19:
                                        ; implicit-def: $vgpr2
.LBB91_20:
	v_add3_u32 v2, v6, s3, v0
.LBB91_21:
	v_cndmask_b32_e64 v18, 0, 1, s10
	v_dual_mov_b32 v15, 0 :: v_dual_mov_b32 v14, 0
	s_and_not1_b32 vcc_lo, exec_lo, s10
	s_cbranch_vccnz .LBB91_23
; %bb.22:
	v_dual_mov_b32 v20, 0 :: v_dual_add_nc_u32 v19, s24, v1
	s_delay_alu instid0(VALU_DEP_1) | instskip(NEXT) | instid1(VALU_DEP_1)
	v_lshlrev_b64 v[19:20], 2, v[19:20]
	v_add_co_u32 v19, vcc_lo, s6, v19
	s_delay_alu instid0(VALU_DEP_2)
	v_add_co_ci_u32_e32 v20, vcc_lo, s7, v20, vcc_lo
	global_load_b32 v1, v[19:20], off
	s_waitcnt vmcnt(0)
	v_cvt_f32_i32_e32 v14, v1
.LBB91_23:
	v_cndmask_b32_e64 v19, 0, 1, s9
	s_and_not1_b32 vcc_lo, exec_lo, s9
	s_cbranch_vccnz .LBB91_25
; %bb.24:
	v_dual_mov_b32 v2, 0 :: v_dual_add_nc_u32 v1, s24, v2
	s_delay_alu instid0(VALU_DEP_1) | instskip(NEXT) | instid1(VALU_DEP_1)
	v_lshlrev_b64 v[1:2], 2, v[1:2]
	v_add_co_u32 v1, vcc_lo, s12, v1
	s_delay_alu instid0(VALU_DEP_2)
	v_add_co_ci_u32_e32 v2, vcc_lo, s13, v2, vcc_lo
	global_load_b32 v1, v[1:2], off
	s_waitcnt vmcnt(0)
	v_cvt_f32_i32_e32 v15, v1
.LBB91_25:
	v_cmp_ne_u32_e32 vcc_lo, 1, v16
	s_cbranch_vccnz .LBB91_27
; %bb.26:
	v_add_nc_u32_e32 v20, 2, v7
	s_delay_alu instid0(VALU_DEP_1)
	v_mad_u64_u32 v[1:2], null, v20, s2, v[0:1]
	s_cbranch_execz .LBB91_28
	s_branch .LBB91_29
.LBB91_27:
                                        ; implicit-def: $vgpr1
.LBB91_28:
	v_add_nc_u32_e32 v1, 2, v5
.LBB91_29:
	v_cmp_ne_u32_e32 vcc_lo, 1, v17
	s_cbranch_vccnz .LBB91_31
; %bb.30:
	v_add_nc_u32_e32 v2, 2, v13
	s_cbranch_execz .LBB91_32
	s_branch .LBB91_33
.LBB91_31:
                                        ; implicit-def: $vgpr2
.LBB91_32:
	s_lshl_b32 s0, s3, 1
	s_delay_alu instid0(SALU_CYCLE_1)
	v_add3_u32 v2, v6, s0, v0
.LBB91_33:
	v_cmp_ne_u32_e32 vcc_lo, 1, v18
	v_dual_mov_b32 v21, 0 :: v_dual_mov_b32 v20, 0
	s_cbranch_vccnz .LBB91_35
; %bb.34:
	v_dual_mov_b32 v23, 0 :: v_dual_add_nc_u32 v22, s24, v1
	s_delay_alu instid0(VALU_DEP_1) | instskip(NEXT) | instid1(VALU_DEP_1)
	v_lshlrev_b64 v[22:23], 2, v[22:23]
	v_add_co_u32 v22, vcc_lo, s6, v22
	s_delay_alu instid0(VALU_DEP_2)
	v_add_co_ci_u32_e32 v23, vcc_lo, s7, v23, vcc_lo
	global_load_b32 v1, v[22:23], off
	s_waitcnt vmcnt(0)
	v_cvt_f32_i32_e32 v20, v1
.LBB91_35:
	v_cmp_ne_u32_e32 vcc_lo, 1, v19
	s_cbranch_vccnz .LBB91_37
; %bb.36:
	v_dual_mov_b32 v2, 0 :: v_dual_add_nc_u32 v1, s24, v2
	s_delay_alu instid0(VALU_DEP_1) | instskip(NEXT) | instid1(VALU_DEP_1)
	v_lshlrev_b64 v[1:2], 2, v[1:2]
	v_add_co_u32 v1, vcc_lo, s12, v1
	s_delay_alu instid0(VALU_DEP_2)
	v_add_co_ci_u32_e32 v2, vcc_lo, s13, v2, vcc_lo
	global_load_b32 v1, v[1:2], off
	s_waitcnt vmcnt(0)
	v_cvt_f32_i32_e32 v21, v1
.LBB91_37:
	v_cmp_ne_u32_e32 vcc_lo, 1, v16
	s_cbranch_vccnz .LBB91_39
; %bb.38:
	v_add_nc_u32_e32 v7, 3, v7
	s_delay_alu instid0(VALU_DEP_1)
	v_mad_u64_u32 v[1:2], null, v7, s2, v[0:1]
	s_cbranch_execz .LBB91_40
	s_branch .LBB91_41
.LBB91_39:
                                        ; implicit-def: $vgpr1
.LBB91_40:
	v_add_nc_u32_e32 v1, 3, v5
.LBB91_41:
	v_cmp_ne_u32_e32 vcc_lo, 1, v17
	s_cbranch_vccnz .LBB91_43
; %bb.42:
	v_add_nc_u32_e32 v2, 3, v13
	s_cbranch_execz .LBB91_44
	s_branch .LBB91_45
.LBB91_43:
                                        ; implicit-def: $vgpr2
.LBB91_44:
	s_mul_i32 s0, s3, 3
	s_delay_alu instid0(SALU_CYCLE_1)
	v_add3_u32 v2, v6, s0, v0
.LBB91_45:
	v_cmp_ne_u32_e32 vcc_lo, 1, v18
	v_dual_mov_b32 v6, 0 :: v_dual_mov_b32 v5, 0
	s_cbranch_vccnz .LBB91_47
; %bb.46:
	v_dual_mov_b32 v17, 0 :: v_dual_add_nc_u32 v16, s24, v1
	s_delay_alu instid0(VALU_DEP_1) | instskip(NEXT) | instid1(VALU_DEP_1)
	v_lshlrev_b64 v[16:17], 2, v[16:17]
	v_add_co_u32 v16, vcc_lo, s6, v16
	s_delay_alu instid0(VALU_DEP_2)
	v_add_co_ci_u32_e32 v17, vcc_lo, s7, v17, vcc_lo
	global_load_b32 v1, v[16:17], off
	s_waitcnt vmcnt(0)
	v_cvt_f32_i32_e32 v5, v1
.LBB91_47:
	v_cmp_ne_u32_e32 vcc_lo, 1, v19
	s_cbranch_vccnz .LBB91_49
; %bb.48:
	v_dual_mov_b32 v2, 0 :: v_dual_add_nc_u32 v1, s24, v2
	s_delay_alu instid0(VALU_DEP_1) | instskip(NEXT) | instid1(VALU_DEP_1)
	v_lshlrev_b64 v[1:2], 2, v[1:2]
	v_add_co_u32 v1, vcc_lo, s12, v1
	s_delay_alu instid0(VALU_DEP_2)
	v_add_co_ci_u32_e32 v2, vcc_lo, s13, v2, vcc_lo
	global_load_b32 v1, v[1:2], off
	s_waitcnt vmcnt(0)
	v_cvt_f32_i32_e32 v6, v1
.LBB91_49:
	v_dual_mul_f32 v1, s16, v4 :: v_dual_mul_f32 v2, s16, v15
	s_delay_alu instid0(VALU_DEP_2) | instskip(SKIP_1) | instid1(VALU_DEP_2)
	v_dual_mul_f32 v4, s16, v21 :: v_dual_mul_f32 v7, s16, v6
	s_mov_b32 s0, exec_lo
	v_dual_fmac_f32 v1, s15, v3 :: v_dual_fmac_f32 v2, s15, v14
	s_delay_alu instid0(VALU_DEP_2) | instskip(NEXT) | instid1(VALU_DEP_2)
	v_dual_fmac_f32 v4, s15, v20 :: v_dual_fmac_f32 v7, s15, v5
	v_cvt_i32_f32_e32 v13, v1
	s_delay_alu instid0(VALU_DEP_3) | instskip(NEXT) | instid1(VALU_DEP_3)
	v_cvt_i32_f32_e32 v1, v2
	v_cvt_i32_f32_e32 v6, v4
	s_delay_alu instid0(VALU_DEP_4)
	v_cvt_i32_f32_e32 v5, v7
	v_cmpx_ge_u32_e64 s1, v11
	s_xor_b32 s0, exec_lo, s0
	s_cbranch_execz .LBB91_51
; %bb.50:
	v_mul_lo_u32 v0, v0, s8
	s_delay_alu instid0(VALU_DEP_1) | instskip(NEXT) | instid1(VALU_DEP_1)
	v_add3_u32 v0, v8, s24, v0
	v_sub_nc_u32_e32 v2, v0, v12
	v_mov_b32_e32 v3, 0
	s_delay_alu instid0(VALU_DEP_2) | instskip(NEXT) | instid1(VALU_DEP_2)
	v_add_nc_u32_e32 v7, 1, v2
	v_lshlrev_b64 v[11:12], 2, v[2:3]
	v_add_nc_u32_e32 v9, 2, v2
	v_add_nc_u32_e32 v2, 3, v2
	v_mov_b32_e32 v8, v3
	v_mov_b32_e32 v10, v3
	v_add_co_u32 v11, vcc_lo, s4, v11
	s_delay_alu instid0(VALU_DEP_3) | instskip(NEXT) | instid1(VALU_DEP_3)
	v_lshlrev_b64 v[7:8], 2, v[7:8]
	v_lshlrev_b64 v[9:10], 2, v[9:10]
	v_add_co_ci_u32_e32 v12, vcc_lo, s5, v12, vcc_lo
	v_lshlrev_b64 v[2:3], 2, v[2:3]
	s_delay_alu instid0(VALU_DEP_4)
	v_add_co_u32 v7, vcc_lo, s4, v7
	v_add_co_ci_u32_e32 v8, vcc_lo, s5, v8, vcc_lo
	v_add_co_u32 v9, vcc_lo, s4, v9
	v_add_co_ci_u32_e32 v10, vcc_lo, s5, v10, vcc_lo
	;; [unrolled: 2-line block ×3, first 2 shown]
	s_clause 0x3
	global_store_b32 v[11:12], v13, off
	global_store_b32 v[7:8], v1, off
	;; [unrolled: 1-line block ×4, first 2 shown]
                                        ; implicit-def: $vgpr0_vgpr1_vgpr2_vgpr3
                                        ; implicit-def: $vgpr4_vgpr5_vgpr6_vgpr7
                                        ; implicit-def: $vgpr9
                                        ; implicit-def: $vgpr10
                                        ; implicit-def: $vgpr8
                                        ; implicit-def: $vgpr11
                                        ; implicit-def: $vgpr12
                                        ; implicit-def: $vgpr13
                                        ; implicit-def: $vgpr2_vgpr3_vgpr4_vgpr5
.LBB91_51:
	s_and_not1_saveexec_b32 s0, s0
	s_cbranch_execz .LBB91_55
; %bb.52:
	v_cmp_gt_u32_e32 vcc_lo, 4, v12
	s_and_b32 exec_lo, exec_lo, vcc_lo
	s_cbranch_execz .LBB91_55
; %bb.53:
	v_lshl_or_b32 v0, s21, 4, v9
	s_lshl_b32 s0, s14, 4
	v_min_u32_e32 v2, s1, v11
	s_add_i32 s11, s11, s24
	s_mov_b32 s1, 0
	v_subrev_nc_u32_e32 v0, s0, v0
	s_delay_alu instid0(VALU_DEP_1) | instskip(SKIP_1) | instid1(VALU_DEP_1)
	v_mul_lo_u32 v3, s8, v0
	v_sub_nc_u32_e32 v0, v8, v2
	v_add_nc_u32_e32 v0, 3, v0
	s_delay_alu instid0(VALU_DEP_3)
	v_add3_u32 v2, s11, v3, v10
	v_mov_b32_e32 v3, 0
	.p2align	6
.LBB91_54:                              ; =>This Inner Loop Header: Depth=1
	s_delay_alu instid0(VALU_DEP_3) | instskip(NEXT) | instid1(VALU_DEP_2)
	v_add_nc_u32_e32 v0, 1, v0
	v_lshlrev_b64 v[7:8], 2, v[2:3]
	v_add_nc_u32_e32 v2, 1, v2
	s_delay_alu instid0(VALU_DEP_3) | instskip(SKIP_3) | instid1(VALU_DEP_2)
	v_cmp_eq_u32_e32 vcc_lo, 1, v0
	v_cmp_eq_u32_e64 s0, 2, v0
	v_cndmask_b32_e32 v4, v13, v1, vcc_lo
	v_cmp_lt_u32_e32 vcc_lo, 2, v0
	v_cndmask_b32_e64 v4, v4, v6, s0
	v_add_co_u32 v7, s0, s4, v7
	s_delay_alu instid0(VALU_DEP_1) | instskip(SKIP_2) | instid1(VALU_DEP_1)
	v_add_co_ci_u32_e64 v8, s0, s5, v8, s0
	v_cmp_eq_u32_e64 s0, 3, v0
	s_or_b32 s1, vcc_lo, s1
	v_cndmask_b32_e64 v4, v4, v5, s0
	global_store_b32 v[7:8], v4, off
	s_and_not1_b32 exec_lo, exec_lo, s1
	s_cbranch_execnz .LBB91_54
.LBB91_55:
	s_endpgm
	.section	.rodata,"a",@progbits
	.p2align	6, 0x0
	.amdhsa_kernel Transform_I32_S_011_16_16_VW_4
		.amdhsa_group_segment_fixed_size 0
		.amdhsa_private_segment_fixed_size 64
		.amdhsa_kernarg_size 344
		.amdhsa_user_sgpr_count 14
		.amdhsa_user_sgpr_dispatch_ptr 0
		.amdhsa_user_sgpr_queue_ptr 0
		.amdhsa_user_sgpr_kernarg_segment_ptr 1
		.amdhsa_user_sgpr_dispatch_id 0
		.amdhsa_user_sgpr_private_segment_size 0
		.amdhsa_wavefront_size32 1
		.amdhsa_uses_dynamic_stack 0
		.amdhsa_enable_private_segment 1
		.amdhsa_system_sgpr_workgroup_id_x 1
		.amdhsa_system_sgpr_workgroup_id_y 0
		.amdhsa_system_sgpr_workgroup_id_z 1
		.amdhsa_system_sgpr_workgroup_info 0
		.amdhsa_system_vgpr_workitem_id 0
		.amdhsa_next_free_vgpr 42
		.amdhsa_next_free_sgpr 34
		.amdhsa_reserve_vcc 1
		.amdhsa_float_round_mode_32 0
		.amdhsa_float_round_mode_16_64 0
		.amdhsa_float_denorm_mode_32 3
		.amdhsa_float_denorm_mode_16_64 3
		.amdhsa_dx10_clamp 1
		.amdhsa_ieee_mode 1
		.amdhsa_fp16_overflow 0
		.amdhsa_workgroup_processor_mode 1
		.amdhsa_memory_ordered 1
		.amdhsa_forward_progress 0
		.amdhsa_shared_vgpr_count 0
		.amdhsa_exception_fp_ieee_invalid_op 0
		.amdhsa_exception_fp_denorm_src 0
		.amdhsa_exception_fp_ieee_div_zero 0
		.amdhsa_exception_fp_ieee_overflow 0
		.amdhsa_exception_fp_ieee_underflow 0
		.amdhsa_exception_fp_ieee_inexact 0
		.amdhsa_exception_int_div_zero 0
	.end_amdhsa_kernel
	.text
.Lfunc_end91:
	.size	Transform_I32_S_011_16_16_VW_4, .Lfunc_end91-Transform_I32_S_011_16_16_VW_4
                                        ; -- End function
	.section	.AMDGPU.csdata,"",@progbits
; Kernel info:
; codeLenInByte = 1844
; NumSgprs: 36
; NumVgprs: 42
; ScratchSize: 64
; MemoryBound: 0
; FloatMode: 240
; IeeeMode: 1
; LDSByteSize: 0 bytes/workgroup (compile time only)
; SGPRBlocks: 4
; VGPRBlocks: 5
; NumSGPRsForWavesPerEU: 36
; NumVGPRsForWavesPerEU: 42
; Occupancy: 16
; WaveLimiterHint : 1
; COMPUTE_PGM_RSRC2:SCRATCH_EN: 1
; COMPUTE_PGM_RSRC2:USER_SGPR: 14
; COMPUTE_PGM_RSRC2:TRAP_HANDLER: 0
; COMPUTE_PGM_RSRC2:TGID_X_EN: 1
; COMPUTE_PGM_RSRC2:TGID_Y_EN: 0
; COMPUTE_PGM_RSRC2:TGID_Z_EN: 1
; COMPUTE_PGM_RSRC2:TIDIG_COMP_CNT: 0
	.text
	.protected	Transform_I32_S_010_16_16_VW_1 ; -- Begin function Transform_I32_S_010_16_16_VW_1
	.globl	Transform_I32_S_010_16_16_VW_1
	.p2align	8
	.type	Transform_I32_S_010_16_16_VW_1,@function
Transform_I32_S_010_16_16_VW_1:         ; @Transform_I32_S_010_16_16_VW_1
; %bb.0:
	s_mov_b64 s[22:23], s[0:1]
	s_load_b32 s0, s[0:1], 0x64
	v_mov_b32_e32 v41, v0
	s_mov_b32 s21, s15
	s_mov_b32 s24, s14
	;; [unrolled: 1-line block ×3, first 2 shown]
	s_waitcnt lgkmcnt(0)
	v_cmp_eq_u16_e64 s0, 0x100, s0
	s_delay_alu instid0(VALU_DEP_1)
	s_and_b32 vcc_lo, exec_lo, s0
	s_mov_b32 s0, -1
	s_cbranch_vccnz .LBB92_2
; %bb.1:
	s_add_u32 s8, s22, 0x58
	s_addc_u32 s9, s23, 0
	s_getpc_b64 s[0:1]
	s_add_u32 s0, s0, __PRETTY_FUNCTION__._ZN10amd_detail9transformIifLb0ELb1ELb0ELj16ELj16ELj1EEEvPT_PKS1_S4_T0_PKS5_S5_S7_jjjjjjbb@rel32@lo+4
	s_addc_u32 s1, s1, __PRETTY_FUNCTION__._ZN10amd_detail9transformIifLb0ELb1ELb0ELj16ELj16ELj1EEEvPT_PKS1_S4_T0_PKS5_S5_S7_jjjjjjbb@rel32@hi+12
	s_delay_alu instid0(SALU_CYCLE_1) | instskip(SKIP_3) | instid1(SALU_CYCLE_1)
	v_dual_mov_b32 v0, s0 :: v_dual_mov_b32 v1, s1
	s_getpc_b64 s[2:3]
	s_add_u32 s2, s2, __assert_fail@rel32@lo+4
	s_addc_u32 s3, s3, __assert_fail@rel32@hi+12
	s_swappc_b64 s[30:31], s[2:3]
	; divergent unreachable
	s_mov_b32 s0, 0
.LBB92_2:
	s_delay_alu instid0(SALU_CYCLE_1)
	s_and_not1_b32 vcc_lo, exec_lo, s0
	s_cbranch_vccnz .LBB92_14
; %bb.3:
	s_load_b256 s[0:7], s[22:23], 0x38
	s_waitcnt lgkmcnt(0)
	s_and_b32 s7, s0, 15
	s_lshr_b32 s8, s0, 4
	s_cmp_lg_u32 s7, 0
	s_cselect_b32 s7, -1, 0
	s_delay_alu instid0(SALU_CYCLE_1) | instskip(SKIP_4) | instid1(VALU_DEP_1)
	s_cmp_lg_u32 s7, 0
	s_addc_u32 s10, s8, 0
	s_load_b64 s[8:9], s[22:23], 0x20
	v_cvt_f32_u32_e32 v0, s10
	s_sub_i32 s11, 0, s10
	v_rcp_iflag_f32_e32 v0, v0
	s_waitcnt_depctr 0xfff
	v_mul_f32_e32 v0, 0x4f7ffffe, v0
	s_delay_alu instid0(VALU_DEP_1) | instskip(NEXT) | instid1(VALU_DEP_1)
	v_cvt_u32_f32_e32 v0, v0
	v_readfirstlane_b32 s7, v0
	s_delay_alu instid0(VALU_DEP_1) | instskip(NEXT) | instid1(SALU_CYCLE_1)
	s_mul_i32 s11, s11, s7
	s_mul_hi_u32 s11, s7, s11
	s_delay_alu instid0(SALU_CYCLE_1)
	s_add_i32 s7, s7, s11
	s_waitcnt lgkmcnt(0)
	s_cmp_eq_u64 s[8:9], 0
	s_mul_hi_u32 s11, s24, s7
	s_cbranch_scc1 .LBB92_6
; %bb.4:
	s_load_b32 s7, s[8:9], 0x0
	s_load_b64 s[8:9], s[22:23], 0x30
	s_waitcnt lgkmcnt(0)
	s_cmp_eq_u64 s[8:9], 0
	s_cbranch_scc1 .LBB92_7
.LBB92_5:
	s_load_b32 s12, s[8:9], 0x0
	s_branch .LBB92_8
.LBB92_6:
	s_clause 0x1
	s_load_b32 s7, s[22:23], 0x18
	s_load_b64 s[8:9], s[22:23], 0x30
	s_waitcnt lgkmcnt(0)
	s_cmp_eq_u64 s[8:9], 0
	s_cbranch_scc0 .LBB92_5
.LBB92_7:
	s_load_b32 s12, s[22:23], 0x28
.LBB92_8:
	s_mul_i32 s8, s11, s10
	s_add_i32 s9, s11, 1
	s_sub_i32 s8, s24, s8
	v_and_b32_e32 v0, 15, v41
	s_sub_i32 s13, s8, s10
	s_cmp_ge_u32 s8, s10
	v_lshrrev_b32_e32 v1, 4, v41
	s_cselect_b32 s9, s9, s11
	s_cselect_b32 s8, s13, s8
	s_add_i32 s11, s9, 1
	s_cmp_ge_u32 s8, s10
	s_cselect_b32 s8, s11, s9
	s_delay_alu instid0(SALU_CYCLE_1) | instskip(SKIP_2) | instid1(SALU_CYCLE_1)
	s_mul_i32 s9, s8, s10
	v_lshl_add_u32 v1, s8, 4, v1
	s_sub_i32 s9, s24, s9
	v_lshl_or_b32 v0, s9, 4, v0
	s_delay_alu instid0(VALU_DEP_1) | instskip(NEXT) | instid1(VALU_DEP_3)
	v_cmp_gt_u32_e32 vcc_lo, s0, v0
	v_cmp_gt_u32_e64 s0, s1, v1
	s_delay_alu instid0(VALU_DEP_1) | instskip(NEXT) | instid1(SALU_CYCLE_1)
	s_and_b32 s0, vcc_lo, s0
	s_and_saveexec_b32 s1, s0
	s_cbranch_execz .LBB92_14
; %bb.9:
	s_clause 0x1
	s_load_b128 s[8:11], s[22:23], 0x0
	s_load_b64 s[0:1], s[22:23], 0x10
	v_dual_mov_b32 v3, 0 :: v_dual_mov_b32 v2, 0
	s_mul_i32 s21, s21, s5
	s_waitcnt lgkmcnt(0)
	s_cmp_eq_u64 s[10:11], 0
	s_cbranch_scc1 .LBB92_11
; %bb.10:
	s_bitcmp1_b32 s6, 0
	v_mov_b32_e32 v5, 0
	s_cselect_b32 vcc_lo, -1, 0
	v_cndmask_b32_e32 v2, v1, v0, vcc_lo
	v_cndmask_b32_e32 v4, v0, v1, vcc_lo
	s_delay_alu instid0(VALU_DEP_2) | instskip(NEXT) | instid1(VALU_DEP_1)
	v_mul_lo_u32 v2, v2, s2
	v_add3_u32 v4, v4, s21, v2
	s_delay_alu instid0(VALU_DEP_1) | instskip(NEXT) | instid1(VALU_DEP_1)
	v_lshlrev_b64 v[4:5], 2, v[4:5]
	v_add_co_u32 v4, vcc_lo, s10, v4
	s_delay_alu instid0(VALU_DEP_2)
	v_add_co_ci_u32_e32 v5, vcc_lo, s11, v5, vcc_lo
	global_load_b32 v2, v[4:5], off
	s_waitcnt vmcnt(0)
	v_cvt_f32_i32_e32 v2, v2
.LBB92_11:
	s_cmp_eq_u64 s[0:1], 0
	s_cbranch_scc1 .LBB92_13
; %bb.12:
	s_load_b32 s2, s[22:23], 0x50
	v_mov_b32_e32 v4, 0
	s_waitcnt lgkmcnt(0)
	s_bitcmp1_b32 s2, 8
	s_cselect_b32 vcc_lo, -1, 0
	v_cndmask_b32_e32 v3, v0, v1, vcc_lo
	v_cndmask_b32_e32 v5, v1, v0, vcc_lo
	s_delay_alu instid0(VALU_DEP_2) | instskip(NEXT) | instid1(VALU_DEP_1)
	v_mul_lo_u32 v3, v3, s3
	v_add3_u32 v3, v5, s21, v3
	s_delay_alu instid0(VALU_DEP_1) | instskip(NEXT) | instid1(VALU_DEP_1)
	v_lshlrev_b64 v[3:4], 2, v[3:4]
	v_add_co_u32 v3, vcc_lo, s0, v3
	s_delay_alu instid0(VALU_DEP_2)
	v_add_co_ci_u32_e32 v4, vcc_lo, s1, v4, vcc_lo
	global_load_b32 v3, v[3:4], off
	s_waitcnt vmcnt(0)
	v_cvt_f32_i32_e32 v3, v3
.LBB92_13:
	v_mul_lo_u32 v4, v1, s4
	v_mov_b32_e32 v1, 0
	s_delay_alu instid0(VALU_DEP_3) | instskip(NEXT) | instid1(VALU_DEP_1)
	v_mul_f32_e32 v3, s12, v3
	v_fmac_f32_e32 v3, s7, v2
	s_delay_alu instid0(VALU_DEP_4) | instskip(NEXT) | instid1(VALU_DEP_2)
	v_add3_u32 v0, v0, s21, v4
	v_cvt_i32_f32_e32 v2, v3
	s_delay_alu instid0(VALU_DEP_2) | instskip(NEXT) | instid1(VALU_DEP_1)
	v_lshlrev_b64 v[0:1], 2, v[0:1]
	v_add_co_u32 v0, vcc_lo, s8, v0
	s_delay_alu instid0(VALU_DEP_2)
	v_add_co_ci_u32_e32 v1, vcc_lo, s9, v1, vcc_lo
	global_store_b32 v[0:1], v2, off
.LBB92_14:
	s_endpgm
	.section	.rodata,"a",@progbits
	.p2align	6, 0x0
	.amdhsa_kernel Transform_I32_S_010_16_16_VW_1
		.amdhsa_group_segment_fixed_size 0
		.amdhsa_private_segment_fixed_size 64
		.amdhsa_kernarg_size 344
		.amdhsa_user_sgpr_count 14
		.amdhsa_user_sgpr_dispatch_ptr 0
		.amdhsa_user_sgpr_queue_ptr 0
		.amdhsa_user_sgpr_kernarg_segment_ptr 1
		.amdhsa_user_sgpr_dispatch_id 0
		.amdhsa_user_sgpr_private_segment_size 0
		.amdhsa_wavefront_size32 1
		.amdhsa_uses_dynamic_stack 0
		.amdhsa_enable_private_segment 1
		.amdhsa_system_sgpr_workgroup_id_x 1
		.amdhsa_system_sgpr_workgroup_id_y 0
		.amdhsa_system_sgpr_workgroup_id_z 1
		.amdhsa_system_sgpr_workgroup_info 0
		.amdhsa_system_vgpr_workitem_id 0
		.amdhsa_next_free_vgpr 42
		.amdhsa_next_free_sgpr 34
		.amdhsa_reserve_vcc 1
		.amdhsa_float_round_mode_32 0
		.amdhsa_float_round_mode_16_64 0
		.amdhsa_float_denorm_mode_32 3
		.amdhsa_float_denorm_mode_16_64 3
		.amdhsa_dx10_clamp 1
		.amdhsa_ieee_mode 1
		.amdhsa_fp16_overflow 0
		.amdhsa_workgroup_processor_mode 1
		.amdhsa_memory_ordered 1
		.amdhsa_forward_progress 0
		.amdhsa_shared_vgpr_count 0
		.amdhsa_exception_fp_ieee_invalid_op 0
		.amdhsa_exception_fp_denorm_src 0
		.amdhsa_exception_fp_ieee_div_zero 0
		.amdhsa_exception_fp_ieee_overflow 0
		.amdhsa_exception_fp_ieee_underflow 0
		.amdhsa_exception_fp_ieee_inexact 0
		.amdhsa_exception_int_div_zero 0
	.end_amdhsa_kernel
	.text
.Lfunc_end92:
	.size	Transform_I32_S_010_16_16_VW_1, .Lfunc_end92-Transform_I32_S_010_16_16_VW_1
                                        ; -- End function
	.section	.AMDGPU.csdata,"",@progbits
; Kernel info:
; codeLenInByte = 764
; NumSgprs: 36
; NumVgprs: 42
; ScratchSize: 64
; MemoryBound: 0
; FloatMode: 240
; IeeeMode: 1
; LDSByteSize: 0 bytes/workgroup (compile time only)
; SGPRBlocks: 4
; VGPRBlocks: 5
; NumSGPRsForWavesPerEU: 36
; NumVGPRsForWavesPerEU: 42
; Occupancy: 16
; WaveLimiterHint : 1
; COMPUTE_PGM_RSRC2:SCRATCH_EN: 1
; COMPUTE_PGM_RSRC2:USER_SGPR: 14
; COMPUTE_PGM_RSRC2:TRAP_HANDLER: 0
; COMPUTE_PGM_RSRC2:TGID_X_EN: 1
; COMPUTE_PGM_RSRC2:TGID_Y_EN: 0
; COMPUTE_PGM_RSRC2:TGID_Z_EN: 1
; COMPUTE_PGM_RSRC2:TIDIG_COMP_CNT: 0
	.text
	.protected	Transform_I32_S_010_16_16_VW_4 ; -- Begin function Transform_I32_S_010_16_16_VW_4
	.globl	Transform_I32_S_010_16_16_VW_4
	.p2align	8
	.type	Transform_I32_S_010_16_16_VW_4,@function
Transform_I32_S_010_16_16_VW_4:         ; @Transform_I32_S_010_16_16_VW_4
; %bb.0:
	s_mov_b64 s[22:23], s[0:1]
	s_load_b32 s0, s[0:1], 0x64
	v_mov_b32_e32 v41, v0
	s_mov_b32 s24, s15
	s_mov_b32 s21, s14
	;; [unrolled: 1-line block ×3, first 2 shown]
	s_waitcnt lgkmcnt(0)
	v_cmp_eq_u16_e64 s0, 0x100, s0
	s_delay_alu instid0(VALU_DEP_1)
	s_and_b32 vcc_lo, exec_lo, s0
	s_mov_b32 s0, -1
	s_cbranch_vccnz .LBB93_2
; %bb.1:
	s_add_u32 s8, s22, 0x58
	s_addc_u32 s9, s23, 0
	s_getpc_b64 s[0:1]
	s_add_u32 s0, s0, __PRETTY_FUNCTION__._ZN10amd_detail9transformIifLb0ELb1ELb0ELj16ELj16ELj4EEEvPT_PKS1_S4_T0_PKS5_S5_S7_jjjjjjbb@rel32@lo+4
	s_addc_u32 s1, s1, __PRETTY_FUNCTION__._ZN10amd_detail9transformIifLb0ELb1ELb0ELj16ELj16ELj4EEEvPT_PKS1_S4_T0_PKS5_S5_S7_jjjjjjbb@rel32@hi+12
	s_delay_alu instid0(SALU_CYCLE_1) | instskip(SKIP_3) | instid1(SALU_CYCLE_1)
	v_dual_mov_b32 v0, s0 :: v_dual_mov_b32 v1, s1
	s_getpc_b64 s[2:3]
	s_add_u32 s2, s2, __assert_fail@rel32@lo+4
	s_addc_u32 s3, s3, __assert_fail@rel32@hi+12
	s_swappc_b64 s[30:31], s[2:3]
	; divergent unreachable
	s_mov_b32 s0, 0
.LBB93_2:
	s_delay_alu instid0(SALU_CYCLE_1)
	s_and_not1_b32 vcc_lo, exec_lo, s0
	s_cbranch_vccnz .LBB93_55
; %bb.3:
	s_load_b256 s[4:11], s[22:23], 0x38
	s_waitcnt lgkmcnt(0)
	s_and_b32 s0, s4, 63
	s_lshr_b32 s1, s4, 6
	s_cmp_lg_u32 s0, 0
	s_cselect_b32 s0, -1, 0
	s_delay_alu instid0(SALU_CYCLE_1) | instskip(SKIP_4) | instid1(VALU_DEP_1)
	s_cmp_lg_u32 s0, 0
	s_addc_u32 s2, s1, 0
	s_load_b64 s[0:1], s[22:23], 0x20
	v_cvt_f32_u32_e32 v0, s2
	s_sub_i32 s11, 0, s2
	v_rcp_iflag_f32_e32 v0, v0
	s_waitcnt_depctr 0xfff
	v_mul_f32_e32 v0, 0x4f7ffffe, v0
	s_delay_alu instid0(VALU_DEP_1) | instskip(NEXT) | instid1(VALU_DEP_1)
	v_cvt_u32_f32_e32 v0, v0
	v_readfirstlane_b32 s3, v0
	s_delay_alu instid0(VALU_DEP_1) | instskip(NEXT) | instid1(SALU_CYCLE_1)
	s_mul_i32 s11, s11, s3
	s_mul_hi_u32 s11, s3, s11
	s_delay_alu instid0(SALU_CYCLE_1)
	s_add_i32 s3, s3, s11
	s_waitcnt lgkmcnt(0)
	s_cmp_eq_u64 s[0:1], 0
	s_mul_hi_u32 s3, s21, s3
	s_cbranch_scc1 .LBB93_6
; %bb.4:
	s_load_b32 s11, s[0:1], 0x0
	s_load_b64 s[0:1], s[22:23], 0x30
	s_waitcnt lgkmcnt(0)
	s_cmp_eq_u64 s[0:1], 0
	s_cbranch_scc1 .LBB93_7
.LBB93_5:
	s_load_b32 s16, s[0:1], 0x0
	s_branch .LBB93_8
.LBB93_6:
	s_clause 0x1
	s_load_b32 s11, s[22:23], 0x18
	s_load_b64 s[0:1], s[22:23], 0x30
	s_waitcnt lgkmcnt(0)
	s_cmp_eq_u64 s[0:1], 0
	s_cbranch_scc0 .LBB93_5
.LBB93_7:
	s_load_b32 s16, s[22:23], 0x28
.LBB93_8:
	s_mul_i32 s0, s3, s2
	s_add_i32 s1, s3, 1
	s_sub_i32 s0, s21, s0
	v_lshrrev_b32_e32 v0, 4, v41
	s_sub_i32 s12, s0, s2
	s_cmp_ge_u32 s0, s2
	s_cselect_b32 s1, s1, s3
	s_cselect_b32 s0, s12, s0
	s_add_i32 s3, s1, 1
	s_cmp_ge_u32 s0, s2
	s_mov_b32 s0, exec_lo
	s_cselect_b32 s1, s3, s1
	s_delay_alu instid0(SALU_CYCLE_1) | instskip(NEXT) | instid1(VALU_DEP_1)
	v_lshl_add_u32 v0, s1, 4, v0
	v_cmpx_gt_u32_e64 s5, v0
	s_cbranch_execz .LBB93_55
; %bb.9:
	v_dual_mov_b32 v12, 0 :: v_dual_lshlrev_b32 v1, 2, v41
	s_mul_i32 s1, s1, s2
	s_clause 0x1
	s_load_b128 s[12:15], s[22:23], 0x0
	s_load_b64 s[2:3], s[22:23], 0x10
	v_dual_mov_b32 v13, 0 :: v_dual_and_b32 v8, 60, v1
	s_sub_i32 s0, s21, s1
	s_bitcmp1_b32 s10, 0
	s_mul_i32 s24, s24, s9
	s_delay_alu instid0(VALU_DEP_1) | instskip(SKIP_1) | instid1(VALU_DEP_1)
	v_lshl_or_b32 v10, s0, 6, v8
	s_cselect_b32 vcc_lo, -1, 0
	v_add_nc_u32_e32 v11, 4, v10
	s_delay_alu instid0(VALU_DEP_1) | instskip(SKIP_3) | instid1(VALU_DEP_1)
	v_sub_nc_u32_e64 v9, v11, s4 clamp
	s_waitcnt lgkmcnt(0)
	s_cmp_lg_u64 s[14:15], 0
	s_cselect_b32 s5, -1, 0
	v_sub_nc_u32_e32 v1, v10, v9
	s_cmp_eq_u64 s[14:15], 0
	s_delay_alu instid0(VALU_DEP_1)
	v_mad_u64_u32 v[4:5], null, v0, s6, v[1:2]
	s_cbranch_scc1 .LBB93_11
; %bb.10:
	v_mad_u64_u32 v[2:3], null, v1, s6, v[0:1]
	s_delay_alu instid0(VALU_DEP_1) | instskip(NEXT) | instid1(VALU_DEP_1)
	v_dual_mov_b32 v3, 0 :: v_dual_cndmask_b32 v2, v4, v2
	v_add_nc_u32_e32 v2, s24, v2
	s_delay_alu instid0(VALU_DEP_1) | instskip(NEXT) | instid1(VALU_DEP_1)
	v_lshlrev_b64 v[2:3], 2, v[2:3]
	v_add_co_u32 v2, s0, s14, v2
	s_delay_alu instid0(VALU_DEP_1)
	v_add_co_ci_u32_e64 v3, s0, s15, v3, s0
	global_load_b32 v2, v[2:3], off
	s_waitcnt vmcnt(0)
	v_cvt_f32_i32_e32 v12, v2
.LBB93_11:
	s_load_b32 s0, s[22:23], 0x50
	v_mad_u64_u32 v[2:3], null, v0, s7, v[1:2]
	s_xor_b32 s10, vcc_lo, -1
	s_waitcnt lgkmcnt(0)
	s_bitcmp1_b32 s0, 8
	s_cselect_b32 s0, -1, 0
	s_cmp_lg_u64 s[2:3], 0
	s_cselect_b32 s9, -1, 0
	s_cmp_eq_u64 s[2:3], 0
	s_cbranch_scc1 .LBB93_13
; %bb.12:
	v_mad_u64_u32 v[5:6], null, v1, s7, v[0:1]
	s_delay_alu instid0(VALU_DEP_1) | instskip(NEXT) | instid1(VALU_DEP_1)
	v_cndmask_b32_e64 v3, v5, v2, s0
	v_dual_mov_b32 v6, 0 :: v_dual_add_nc_u32 v5, s24, v3
	s_delay_alu instid0(VALU_DEP_1) | instskip(NEXT) | instid1(VALU_DEP_1)
	v_lshlrev_b64 v[5:6], 2, v[5:6]
	v_add_co_u32 v5, vcc_lo, s2, v5
	s_delay_alu instid0(VALU_DEP_2)
	v_add_co_ci_u32_e32 v6, vcc_lo, s3, v6, vcc_lo
	global_load_b32 v3, v[5:6], off
	s_waitcnt vmcnt(0)
	v_cvt_f32_i32_e32 v13, v3
.LBB93_13:
	v_cndmask_b32_e64 v3, 0, 1, s10
	s_and_not1_b32 vcc_lo, exec_lo, s10
	s_cbranch_vccnz .LBB93_15
; %bb.14:
	v_add_nc_u32_e32 v5, 1, v4
	s_xor_b32 s0, s0, -1
	s_cbranch_execz .LBB93_16
	s_branch .LBB93_17
.LBB93_15:
                                        ; implicit-def: $vgpr5
	s_xor_b32 s0, s0, -1
.LBB93_16:
	v_mul_lo_u32 v5, s6, v1
	s_delay_alu instid0(VALU_DEP_1)
	v_add3_u32 v5, v5, s6, v0
.LBB93_17:
	v_cndmask_b32_e64 v16, 0, 1, s0
	s_and_not1_b32 vcc_lo, exec_lo, s0
	s_cbranch_vccnz .LBB93_19
; %bb.18:
	v_mul_lo_u32 v6, s7, v1
	s_delay_alu instid0(VALU_DEP_1)
	v_add3_u32 v6, v6, s7, v0
	s_cbranch_execz .LBB93_20
	s_branch .LBB93_21
.LBB93_19:
                                        ; implicit-def: $vgpr6
.LBB93_20:
	v_add_nc_u32_e32 v6, 1, v2
.LBB93_21:
	v_cndmask_b32_e64 v17, 0, 1, s5
	v_dual_mov_b32 v15, 0 :: v_dual_mov_b32 v14, 0
	s_and_not1_b32 vcc_lo, exec_lo, s5
	s_cbranch_vccnz .LBB93_23
; %bb.22:
	v_dual_mov_b32 v19, 0 :: v_dual_add_nc_u32 v18, s24, v5
	s_delay_alu instid0(VALU_DEP_1) | instskip(NEXT) | instid1(VALU_DEP_1)
	v_lshlrev_b64 v[18:19], 2, v[18:19]
	v_add_co_u32 v18, vcc_lo, s14, v18
	s_delay_alu instid0(VALU_DEP_2)
	v_add_co_ci_u32_e32 v19, vcc_lo, s15, v19, vcc_lo
	global_load_b32 v5, v[18:19], off
	s_waitcnt vmcnt(0)
	v_cvt_f32_i32_e32 v14, v5
.LBB93_23:
	v_cndmask_b32_e64 v18, 0, 1, s9
	s_and_not1_b32 vcc_lo, exec_lo, s9
	s_cbranch_vccnz .LBB93_25
; %bb.24:
	v_dual_mov_b32 v6, 0 :: v_dual_add_nc_u32 v5, s24, v6
	s_delay_alu instid0(VALU_DEP_1) | instskip(NEXT) | instid1(VALU_DEP_1)
	v_lshlrev_b64 v[5:6], 2, v[5:6]
	v_add_co_u32 v5, vcc_lo, s2, v5
	s_delay_alu instid0(VALU_DEP_2)
	v_add_co_ci_u32_e32 v6, vcc_lo, s3, v6, vcc_lo
	global_load_b32 v5, v[5:6], off
	s_waitcnt vmcnt(0)
	v_cvt_f32_i32_e32 v15, v5
.LBB93_25:
	v_cmp_ne_u32_e32 vcc_lo, 1, v3
	s_cbranch_vccnz .LBB93_27
; %bb.26:
	v_add_nc_u32_e32 v5, 2, v4
	v_add_nc_u32_e32 v19, 2, v1
	s_cbranch_execz .LBB93_28
	s_branch .LBB93_29
.LBB93_27:
                                        ; implicit-def: $vgpr5
	v_add_nc_u32_e32 v19, 2, v1
.LBB93_28:
	s_delay_alu instid0(VALU_DEP_1)
	v_mad_u64_u32 v[5:6], null, v19, s6, v[0:1]
.LBB93_29:
	v_cmp_ne_u32_e32 vcc_lo, 1, v16
	s_cbranch_vccnz .LBB93_31
; %bb.30:
	v_mad_u64_u32 v[6:7], null, v19, s7, v[0:1]
	s_cbranch_execz .LBB93_32
	s_branch .LBB93_33
.LBB93_31:
                                        ; implicit-def: $vgpr6
.LBB93_32:
	v_add_nc_u32_e32 v6, 2, v2
.LBB93_33:
	v_cmp_ne_u32_e32 vcc_lo, 1, v17
	v_mov_b32_e32 v19, 0
	v_mov_b32_e32 v7, 0
	s_cbranch_vccnz .LBB93_35
; %bb.34:
	v_dual_mov_b32 v21, 0 :: v_dual_add_nc_u32 v20, s24, v5
	s_delay_alu instid0(VALU_DEP_1) | instskip(NEXT) | instid1(VALU_DEP_1)
	v_lshlrev_b64 v[20:21], 2, v[20:21]
	v_add_co_u32 v20, vcc_lo, s14, v20
	s_delay_alu instid0(VALU_DEP_2)
	v_add_co_ci_u32_e32 v21, vcc_lo, s15, v21, vcc_lo
	global_load_b32 v5, v[20:21], off
	s_waitcnt vmcnt(0)
	v_cvt_f32_i32_e32 v7, v5
.LBB93_35:
	v_cmp_ne_u32_e32 vcc_lo, 1, v18
	s_cbranch_vccnz .LBB93_37
; %bb.36:
	v_dual_mov_b32 v6, 0 :: v_dual_add_nc_u32 v5, s24, v6
	s_delay_alu instid0(VALU_DEP_1) | instskip(NEXT) | instid1(VALU_DEP_1)
	v_lshlrev_b64 v[5:6], 2, v[5:6]
	v_add_co_u32 v5, vcc_lo, s2, v5
	s_delay_alu instid0(VALU_DEP_2)
	v_add_co_ci_u32_e32 v6, vcc_lo, s3, v6, vcc_lo
	global_load_b32 v5, v[5:6], off
	s_waitcnt vmcnt(0)
	v_cvt_f32_i32_e32 v19, v5
.LBB93_37:
	v_cmp_ne_u32_e32 vcc_lo, 1, v3
	s_cbranch_vccnz .LBB93_39
; %bb.38:
	v_add_nc_u32_e32 v3, 3, v4
	v_add_nc_u32_e32 v1, 3, v1
	s_cbranch_execz .LBB93_40
	s_branch .LBB93_41
.LBB93_39:
                                        ; implicit-def: $vgpr3
	v_add_nc_u32_e32 v1, 3, v1
.LBB93_40:
	s_delay_alu instid0(VALU_DEP_1)
	v_mad_u64_u32 v[3:4], null, v1, s6, v[0:1]
.LBB93_41:
	v_cmp_ne_u32_e32 vcc_lo, 1, v16
	s_cbranch_vccnz .LBB93_43
; %bb.42:
	v_mad_u64_u32 v[4:5], null, v1, s7, v[0:1]
	s_cbranch_execz .LBB93_44
	s_branch .LBB93_45
.LBB93_43:
                                        ; implicit-def: $vgpr4
.LBB93_44:
	v_add_nc_u32_e32 v4, 3, v2
.LBB93_45:
	v_cmp_ne_u32_e32 vcc_lo, 1, v17
	v_dual_mov_b32 v2, 0 :: v_dual_mov_b32 v1, 0
	s_cbranch_vccnz .LBB93_47
; %bb.46:
	v_dual_mov_b32 v6, 0 :: v_dual_add_nc_u32 v5, s24, v3
	s_delay_alu instid0(VALU_DEP_1) | instskip(NEXT) | instid1(VALU_DEP_1)
	v_lshlrev_b64 v[5:6], 2, v[5:6]
	v_add_co_u32 v5, vcc_lo, s14, v5
	s_delay_alu instid0(VALU_DEP_2)
	v_add_co_ci_u32_e32 v6, vcc_lo, s15, v6, vcc_lo
	global_load_b32 v1, v[5:6], off
	s_waitcnt vmcnt(0)
	v_cvt_f32_i32_e32 v1, v1
.LBB93_47:
	v_cmp_ne_u32_e32 vcc_lo, 1, v18
	s_cbranch_vccnz .LBB93_49
; %bb.48:
	v_dual_mov_b32 v3, 0 :: v_dual_add_nc_u32 v2, s24, v4
	s_delay_alu instid0(VALU_DEP_1) | instskip(NEXT) | instid1(VALU_DEP_1)
	v_lshlrev_b64 v[2:3], 2, v[2:3]
	v_add_co_u32 v2, vcc_lo, s2, v2
	s_delay_alu instid0(VALU_DEP_2)
	v_add_co_ci_u32_e32 v3, vcc_lo, s3, v3, vcc_lo
	global_load_b32 v2, v[2:3], off
	s_waitcnt vmcnt(0)
	v_cvt_f32_i32_e32 v2, v2
.LBB93_49:
	v_dual_mul_f32 v3, s16, v13 :: v_dual_mul_f32 v4, s16, v15
	s_delay_alu instid0(VALU_DEP_2) | instskip(SKIP_1) | instid1(VALU_DEP_3)
	v_dual_mul_f32 v5, s16, v19 :: v_dual_mul_f32 v2, s16, v2
	v_mul_lo_u32 v13, v0, s8
	v_dual_fmac_f32 v3, s11, v12 :: v_dual_fmac_f32 v4, s11, v14
	s_delay_alu instid0(VALU_DEP_3) | instskip(SKIP_1) | instid1(VALU_DEP_2)
	v_dual_fmac_f32 v5, s11, v7 :: v_dual_fmac_f32 v2, s11, v1
	s_mov_b32 s0, exec_lo
	v_cvt_i32_f32_e32 v12, v3
	s_delay_alu instid0(VALU_DEP_3) | instskip(NEXT) | instid1(VALU_DEP_3)
	v_cvt_i32_f32_e32 v1, v4
	v_cvt_i32_f32_e32 v6, v5
	v_cvt_i32_f32_e32 v5, v2
	v_cmpx_ge_u32_e64 s4, v11
	s_xor_b32 s0, exec_lo, s0
	s_cbranch_execz .LBB93_51
; %bb.50:
	v_dual_mov_b32 v3, 0 :: v_dual_add_nc_u32 v0, s24, v10
	s_delay_alu instid0(VALU_DEP_1) | instskip(NEXT) | instid1(VALU_DEP_1)
	v_sub_nc_u32_e32 v0, v0, v9
	v_add_nc_u32_e32 v2, v0, v13
	s_delay_alu instid0(VALU_DEP_3) | instskip(NEXT) | instid1(VALU_DEP_2)
	v_mov_b32_e32 v8, v3
	v_dual_mov_b32 v10, v3 :: v_dual_add_nc_u32 v9, 2, v2
	v_add_nc_u32_e32 v7, 1, v2
	v_lshlrev_b64 v[13:14], 2, v[2:3]
	v_add_nc_u32_e32 v2, 3, v2
	s_delay_alu instid0(VALU_DEP_4) | instskip(NEXT) | instid1(VALU_DEP_4)
	v_lshlrev_b64 v[9:10], 2, v[9:10]
	v_lshlrev_b64 v[7:8], 2, v[7:8]
	s_delay_alu instid0(VALU_DEP_4) | instskip(SKIP_2) | instid1(VALU_DEP_4)
	v_add_co_u32 v13, vcc_lo, s12, v13
	v_add_co_ci_u32_e32 v14, vcc_lo, s13, v14, vcc_lo
	v_lshlrev_b64 v[2:3], 2, v[2:3]
	v_add_co_u32 v7, vcc_lo, s12, v7
	v_add_co_ci_u32_e32 v8, vcc_lo, s13, v8, vcc_lo
	v_add_co_u32 v9, vcc_lo, s12, v9
	v_add_co_ci_u32_e32 v10, vcc_lo, s13, v10, vcc_lo
	;; [unrolled: 2-line block ×3, first 2 shown]
	s_clause 0x3
	global_store_b32 v[13:14], v12, off
	global_store_b32 v[7:8], v1, off
	;; [unrolled: 1-line block ×4, first 2 shown]
                                        ; implicit-def: $vgpr0_vgpr1_vgpr2_vgpr3
                                        ; implicit-def: $vgpr4_vgpr5_vgpr6_vgpr7
                                        ; implicit-def: $vgpr9
                                        ; implicit-def: $vgpr12
                                        ; implicit-def: $vgpr8
                                        ; implicit-def: $vgpr13
                                        ; implicit-def: $vgpr2_vgpr3_vgpr4_vgpr5
.LBB93_51:
	s_and_not1_saveexec_b32 s0, s0
	s_cbranch_execz .LBB93_55
; %bb.52:
	v_cmp_gt_u32_e32 vcc_lo, 4, v9
	s_and_b32 exec_lo, exec_lo, vcc_lo
	s_cbranch_execz .LBB93_55
; %bb.53:
	v_lshl_or_b32 v0, s21, 6, v8
	s_lshl_b32 s0, s1, 6
	s_mov_b32 s1, 0
	s_delay_alu instid0(VALU_DEP_1) | instskip(SKIP_1) | instid1(VALU_DEP_2)
	v_subrev_nc_u32_e32 v2, s0, v0
	v_add3_u32 v0, s24, v13, v0
	v_add_nc_u32_e32 v3, 4, v2
	s_delay_alu instid0(VALU_DEP_1) | instskip(NEXT) | instid1(VALU_DEP_1)
	v_min_u32_e32 v3, s4, v3
	v_sub_nc_u32_e32 v3, v2, v3
	s_delay_alu instid0(VALU_DEP_4) | instskip(NEXT) | instid1(VALU_DEP_2)
	v_subrev_nc_u32_e32 v2, s0, v0
	v_dual_mov_b32 v3, 0 :: v_dual_add_nc_u32 v0, 3, v3
	.p2align	6
.LBB93_54:                              ; =>This Inner Loop Header: Depth=1
	s_delay_alu instid0(VALU_DEP_1) | instskip(NEXT) | instid1(VALU_DEP_2)
	v_add_nc_u32_e32 v0, 1, v0
	v_lshlrev_b64 v[7:8], 2, v[2:3]
	v_add_nc_u32_e32 v2, 1, v2
	s_delay_alu instid0(VALU_DEP_3) | instskip(SKIP_3) | instid1(VALU_DEP_2)
	v_cmp_eq_u32_e32 vcc_lo, 1, v0
	v_cmp_eq_u32_e64 s0, 2, v0
	v_cndmask_b32_e32 v4, v12, v1, vcc_lo
	v_cmp_lt_u32_e32 vcc_lo, 2, v0
	v_cndmask_b32_e64 v4, v4, v6, s0
	v_add_co_u32 v7, s0, s12, v7
	s_delay_alu instid0(VALU_DEP_1) | instskip(SKIP_2) | instid1(VALU_DEP_1)
	v_add_co_ci_u32_e64 v8, s0, s13, v8, s0
	v_cmp_eq_u32_e64 s0, 3, v0
	s_or_b32 s1, vcc_lo, s1
	v_cndmask_b32_e64 v4, v4, v5, s0
	global_store_b32 v[7:8], v4, off
	s_and_not1_b32 exec_lo, exec_lo, s1
	s_cbranch_execnz .LBB93_54
.LBB93_55:
	s_endpgm
	.section	.rodata,"a",@progbits
	.p2align	6, 0x0
	.amdhsa_kernel Transform_I32_S_010_16_16_VW_4
		.amdhsa_group_segment_fixed_size 0
		.amdhsa_private_segment_fixed_size 64
		.amdhsa_kernarg_size 344
		.amdhsa_user_sgpr_count 14
		.amdhsa_user_sgpr_dispatch_ptr 0
		.amdhsa_user_sgpr_queue_ptr 0
		.amdhsa_user_sgpr_kernarg_segment_ptr 1
		.amdhsa_user_sgpr_dispatch_id 0
		.amdhsa_user_sgpr_private_segment_size 0
		.amdhsa_wavefront_size32 1
		.amdhsa_uses_dynamic_stack 0
		.amdhsa_enable_private_segment 1
		.amdhsa_system_sgpr_workgroup_id_x 1
		.amdhsa_system_sgpr_workgroup_id_y 0
		.amdhsa_system_sgpr_workgroup_id_z 1
		.amdhsa_system_sgpr_workgroup_info 0
		.amdhsa_system_vgpr_workitem_id 0
		.amdhsa_next_free_vgpr 42
		.amdhsa_next_free_sgpr 34
		.amdhsa_reserve_vcc 1
		.amdhsa_float_round_mode_32 0
		.amdhsa_float_round_mode_16_64 0
		.amdhsa_float_denorm_mode_32 3
		.amdhsa_float_denorm_mode_16_64 3
		.amdhsa_dx10_clamp 1
		.amdhsa_ieee_mode 1
		.amdhsa_fp16_overflow 0
		.amdhsa_workgroup_processor_mode 1
		.amdhsa_memory_ordered 1
		.amdhsa_forward_progress 0
		.amdhsa_shared_vgpr_count 0
		.amdhsa_exception_fp_ieee_invalid_op 0
		.amdhsa_exception_fp_denorm_src 0
		.amdhsa_exception_fp_ieee_div_zero 0
		.amdhsa_exception_fp_ieee_overflow 0
		.amdhsa_exception_fp_ieee_underflow 0
		.amdhsa_exception_fp_ieee_inexact 0
		.amdhsa_exception_int_div_zero 0
	.end_amdhsa_kernel
	.text
.Lfunc_end93:
	.size	Transform_I32_S_010_16_16_VW_4, .Lfunc_end93-Transform_I32_S_010_16_16_VW_4
                                        ; -- End function
	.section	.AMDGPU.csdata,"",@progbits
; Kernel info:
; codeLenInByte = 1820
; NumSgprs: 36
; NumVgprs: 42
; ScratchSize: 64
; MemoryBound: 0
; FloatMode: 240
; IeeeMode: 1
; LDSByteSize: 0 bytes/workgroup (compile time only)
; SGPRBlocks: 4
; VGPRBlocks: 5
; NumSGPRsForWavesPerEU: 36
; NumVGPRsForWavesPerEU: 42
; Occupancy: 16
; WaveLimiterHint : 1
; COMPUTE_PGM_RSRC2:SCRATCH_EN: 1
; COMPUTE_PGM_RSRC2:USER_SGPR: 14
; COMPUTE_PGM_RSRC2:TRAP_HANDLER: 0
; COMPUTE_PGM_RSRC2:TGID_X_EN: 1
; COMPUTE_PGM_RSRC2:TGID_Y_EN: 0
; COMPUTE_PGM_RSRC2:TGID_Z_EN: 1
; COMPUTE_PGM_RSRC2:TIDIG_COMP_CNT: 0
	.text
	.protected	Transform_I32_S_001_16_16_VW_1 ; -- Begin function Transform_I32_S_001_16_16_VW_1
	.globl	Transform_I32_S_001_16_16_VW_1
	.p2align	8
	.type	Transform_I32_S_001_16_16_VW_1,@function
Transform_I32_S_001_16_16_VW_1:         ; @Transform_I32_S_001_16_16_VW_1
; %bb.0:
	s_mov_b64 s[22:23], s[0:1]
	s_load_b32 s0, s[0:1], 0x64
	v_mov_b32_e32 v41, v0
	s_mov_b32 s21, s15
	s_mov_b32 s24, s14
	;; [unrolled: 1-line block ×3, first 2 shown]
	s_waitcnt lgkmcnt(0)
	v_cmp_eq_u16_e64 s0, 0x100, s0
	s_delay_alu instid0(VALU_DEP_1)
	s_and_b32 vcc_lo, exec_lo, s0
	s_mov_b32 s0, -1
	s_cbranch_vccnz .LBB94_2
; %bb.1:
	s_add_u32 s8, s22, 0x58
	s_addc_u32 s9, s23, 0
	s_getpc_b64 s[0:1]
	s_add_u32 s0, s0, __PRETTY_FUNCTION__._ZN10amd_detail9transformIifLb0ELb0ELb1ELj16ELj16ELj1EEEvPT_PKS1_S4_T0_PKS5_S5_S7_jjjjjjbb@rel32@lo+4
	s_addc_u32 s1, s1, __PRETTY_FUNCTION__._ZN10amd_detail9transformIifLb0ELb0ELb1ELj16ELj16ELj1EEEvPT_PKS1_S4_T0_PKS5_S5_S7_jjjjjjbb@rel32@hi+12
	s_delay_alu instid0(SALU_CYCLE_1) | instskip(SKIP_3) | instid1(SALU_CYCLE_1)
	v_dual_mov_b32 v0, s0 :: v_dual_mov_b32 v1, s1
	s_getpc_b64 s[2:3]
	s_add_u32 s2, s2, __assert_fail@rel32@lo+4
	s_addc_u32 s3, s3, __assert_fail@rel32@hi+12
	s_swappc_b64 s[30:31], s[2:3]
	; divergent unreachable
	s_mov_b32 s0, 0
.LBB94_2:
	s_delay_alu instid0(SALU_CYCLE_1)
	s_and_not1_b32 vcc_lo, exec_lo, s0
	s_cbranch_vccnz .LBB94_14
; %bb.3:
	s_load_b256 s[0:7], s[22:23], 0x38
	s_waitcnt lgkmcnt(0)
	s_and_b32 s7, s0, 15
	s_lshr_b32 s8, s0, 4
	s_cmp_lg_u32 s7, 0
	s_cselect_b32 s7, -1, 0
	s_delay_alu instid0(SALU_CYCLE_1) | instskip(SKIP_4) | instid1(VALU_DEP_1)
	s_cmp_lg_u32 s7, 0
	s_addc_u32 s10, s8, 0
	s_load_b64 s[8:9], s[22:23], 0x20
	v_cvt_f32_u32_e32 v0, s10
	s_sub_i32 s11, 0, s10
	v_rcp_iflag_f32_e32 v0, v0
	s_waitcnt_depctr 0xfff
	v_mul_f32_e32 v0, 0x4f7ffffe, v0
	s_delay_alu instid0(VALU_DEP_1) | instskip(NEXT) | instid1(VALU_DEP_1)
	v_cvt_u32_f32_e32 v0, v0
	v_readfirstlane_b32 s7, v0
	s_delay_alu instid0(VALU_DEP_1) | instskip(NEXT) | instid1(SALU_CYCLE_1)
	s_mul_i32 s11, s11, s7
	s_mul_hi_u32 s11, s7, s11
	s_delay_alu instid0(SALU_CYCLE_1)
	s_add_i32 s7, s7, s11
	s_waitcnt lgkmcnt(0)
	s_cmp_eq_u64 s[8:9], 0
	s_mul_hi_u32 s11, s24, s7
	s_cbranch_scc1 .LBB94_6
; %bb.4:
	s_load_b32 s7, s[8:9], 0x0
	s_load_b64 s[8:9], s[22:23], 0x30
	s_waitcnt lgkmcnt(0)
	s_cmp_eq_u64 s[8:9], 0
	s_cbranch_scc1 .LBB94_7
.LBB94_5:
	s_load_b32 s12, s[8:9], 0x0
	s_branch .LBB94_8
.LBB94_6:
	s_clause 0x1
	s_load_b32 s7, s[22:23], 0x18
	s_load_b64 s[8:9], s[22:23], 0x30
	s_waitcnt lgkmcnt(0)
	s_cmp_eq_u64 s[8:9], 0
	s_cbranch_scc0 .LBB94_5
.LBB94_7:
	s_load_b32 s12, s[22:23], 0x28
.LBB94_8:
	s_mul_i32 s8, s11, s10
	s_add_i32 s9, s11, 1
	s_sub_i32 s8, s24, s8
	v_and_b32_e32 v0, 15, v41
	s_sub_i32 s13, s8, s10
	s_cmp_ge_u32 s8, s10
	v_lshrrev_b32_e32 v2, 4, v41
	s_cselect_b32 s9, s9, s11
	s_cselect_b32 s8, s13, s8
	s_add_i32 s11, s9, 1
	s_cmp_ge_u32 s8, s10
	s_cselect_b32 s8, s11, s9
	s_delay_alu instid0(SALU_CYCLE_1) | instskip(NEXT) | instid1(SALU_CYCLE_1)
	s_mul_i32 s9, s8, s10
	s_sub_i32 s9, s24, s9
	s_delay_alu instid0(SALU_CYCLE_1) | instskip(SKIP_1) | instid1(VALU_DEP_2)
	v_lshl_or_b32 v1, s9, 4, v0
	v_lshl_add_u32 v0, s8, 4, v2
	v_cmp_gt_u32_e32 vcc_lo, s0, v1
	s_delay_alu instid0(VALU_DEP_2) | instskip(NEXT) | instid1(VALU_DEP_1)
	v_cmp_gt_u32_e64 s0, s1, v0
	s_and_b32 s0, vcc_lo, s0
	s_delay_alu instid0(SALU_CYCLE_1)
	s_and_saveexec_b32 s1, s0
	s_cbranch_execz .LBB94_14
; %bb.9:
	s_clause 0x1
	s_load_b128 s[8:11], s[22:23], 0x0
	s_load_b64 s[0:1], s[22:23], 0x10
	v_dual_mov_b32 v3, 0 :: v_dual_mov_b32 v2, 0
	s_mul_i32 s21, s21, s5
	s_waitcnt lgkmcnt(0)
	s_cmp_eq_u64 s[10:11], 0
	s_cbranch_scc1 .LBB94_11
; %bb.10:
	s_bitcmp1_b32 s6, 0
	v_mov_b32_e32 v5, 0
	s_cselect_b32 vcc_lo, -1, 0
	v_cndmask_b32_e32 v2, v0, v1, vcc_lo
	v_cndmask_b32_e32 v4, v1, v0, vcc_lo
	s_delay_alu instid0(VALU_DEP_2) | instskip(NEXT) | instid1(VALU_DEP_1)
	v_mul_lo_u32 v2, v2, s2
	v_add3_u32 v4, v4, s21, v2
	s_delay_alu instid0(VALU_DEP_1) | instskip(NEXT) | instid1(VALU_DEP_1)
	v_lshlrev_b64 v[4:5], 2, v[4:5]
	v_add_co_u32 v4, vcc_lo, s10, v4
	s_delay_alu instid0(VALU_DEP_2)
	v_add_co_ci_u32_e32 v5, vcc_lo, s11, v5, vcc_lo
	global_load_b32 v2, v[4:5], off
	s_waitcnt vmcnt(0)
	v_cvt_f32_i32_e32 v2, v2
.LBB94_11:
	s_cmp_eq_u64 s[0:1], 0
	s_cbranch_scc1 .LBB94_13
; %bb.12:
	s_load_b32 s2, s[22:23], 0x50
	v_mov_b32_e32 v4, 0
	s_waitcnt lgkmcnt(0)
	s_bitcmp1_b32 s2, 8
	s_cselect_b32 vcc_lo, -1, 0
	v_cndmask_b32_e32 v3, v0, v1, vcc_lo
	v_cndmask_b32_e32 v5, v1, v0, vcc_lo
	s_delay_alu instid0(VALU_DEP_2) | instskip(NEXT) | instid1(VALU_DEP_1)
	v_mul_lo_u32 v3, v3, s3
	v_add3_u32 v3, v5, s21, v3
	s_delay_alu instid0(VALU_DEP_1) | instskip(NEXT) | instid1(VALU_DEP_1)
	v_lshlrev_b64 v[3:4], 2, v[3:4]
	v_add_co_u32 v3, vcc_lo, s0, v3
	s_delay_alu instid0(VALU_DEP_2)
	v_add_co_ci_u32_e32 v4, vcc_lo, s1, v4, vcc_lo
	global_load_b32 v3, v[3:4], off
	s_waitcnt vmcnt(0)
	v_cvt_f32_i32_e32 v3, v3
.LBB94_13:
	v_mul_lo_u32 v4, v1, s4
	v_mov_b32_e32 v1, 0
	s_delay_alu instid0(VALU_DEP_3) | instskip(NEXT) | instid1(VALU_DEP_1)
	v_mul_f32_e32 v3, s12, v3
	v_fmac_f32_e32 v3, s7, v2
	s_delay_alu instid0(VALU_DEP_4) | instskip(NEXT) | instid1(VALU_DEP_2)
	v_add3_u32 v0, v0, s21, v4
	v_cvt_i32_f32_e32 v2, v3
	s_delay_alu instid0(VALU_DEP_2) | instskip(NEXT) | instid1(VALU_DEP_1)
	v_lshlrev_b64 v[0:1], 2, v[0:1]
	v_add_co_u32 v0, vcc_lo, s8, v0
	s_delay_alu instid0(VALU_DEP_2)
	v_add_co_ci_u32_e32 v1, vcc_lo, s9, v1, vcc_lo
	global_store_b32 v[0:1], v2, off
.LBB94_14:
	s_endpgm
	.section	.rodata,"a",@progbits
	.p2align	6, 0x0
	.amdhsa_kernel Transform_I32_S_001_16_16_VW_1
		.amdhsa_group_segment_fixed_size 0
		.amdhsa_private_segment_fixed_size 64
		.amdhsa_kernarg_size 344
		.amdhsa_user_sgpr_count 14
		.amdhsa_user_sgpr_dispatch_ptr 0
		.amdhsa_user_sgpr_queue_ptr 0
		.amdhsa_user_sgpr_kernarg_segment_ptr 1
		.amdhsa_user_sgpr_dispatch_id 0
		.amdhsa_user_sgpr_private_segment_size 0
		.amdhsa_wavefront_size32 1
		.amdhsa_uses_dynamic_stack 0
		.amdhsa_enable_private_segment 1
		.amdhsa_system_sgpr_workgroup_id_x 1
		.amdhsa_system_sgpr_workgroup_id_y 0
		.amdhsa_system_sgpr_workgroup_id_z 1
		.amdhsa_system_sgpr_workgroup_info 0
		.amdhsa_system_vgpr_workitem_id 0
		.amdhsa_next_free_vgpr 42
		.amdhsa_next_free_sgpr 34
		.amdhsa_reserve_vcc 1
		.amdhsa_float_round_mode_32 0
		.amdhsa_float_round_mode_16_64 0
		.amdhsa_float_denorm_mode_32 3
		.amdhsa_float_denorm_mode_16_64 3
		.amdhsa_dx10_clamp 1
		.amdhsa_ieee_mode 1
		.amdhsa_fp16_overflow 0
		.amdhsa_workgroup_processor_mode 1
		.amdhsa_memory_ordered 1
		.amdhsa_forward_progress 0
		.amdhsa_shared_vgpr_count 0
		.amdhsa_exception_fp_ieee_invalid_op 0
		.amdhsa_exception_fp_denorm_src 0
		.amdhsa_exception_fp_ieee_div_zero 0
		.amdhsa_exception_fp_ieee_overflow 0
		.amdhsa_exception_fp_ieee_underflow 0
		.amdhsa_exception_fp_ieee_inexact 0
		.amdhsa_exception_int_div_zero 0
	.end_amdhsa_kernel
	.text
.Lfunc_end94:
	.size	Transform_I32_S_001_16_16_VW_1, .Lfunc_end94-Transform_I32_S_001_16_16_VW_1
                                        ; -- End function
	.section	.AMDGPU.csdata,"",@progbits
; Kernel info:
; codeLenInByte = 768
; NumSgprs: 36
; NumVgprs: 42
; ScratchSize: 64
; MemoryBound: 0
; FloatMode: 240
; IeeeMode: 1
; LDSByteSize: 0 bytes/workgroup (compile time only)
; SGPRBlocks: 4
; VGPRBlocks: 5
; NumSGPRsForWavesPerEU: 36
; NumVGPRsForWavesPerEU: 42
; Occupancy: 16
; WaveLimiterHint : 1
; COMPUTE_PGM_RSRC2:SCRATCH_EN: 1
; COMPUTE_PGM_RSRC2:USER_SGPR: 14
; COMPUTE_PGM_RSRC2:TRAP_HANDLER: 0
; COMPUTE_PGM_RSRC2:TGID_X_EN: 1
; COMPUTE_PGM_RSRC2:TGID_Y_EN: 0
; COMPUTE_PGM_RSRC2:TGID_Z_EN: 1
; COMPUTE_PGM_RSRC2:TIDIG_COMP_CNT: 0
	.text
	.protected	Transform_I32_S_001_16_16_VW_4 ; -- Begin function Transform_I32_S_001_16_16_VW_4
	.globl	Transform_I32_S_001_16_16_VW_4
	.p2align	8
	.type	Transform_I32_S_001_16_16_VW_4,@function
Transform_I32_S_001_16_16_VW_4:         ; @Transform_I32_S_001_16_16_VW_4
; %bb.0:
	s_mov_b64 s[22:23], s[0:1]
	s_load_b32 s0, s[0:1], 0x64
	v_mov_b32_e32 v41, v0
	s_mov_b32 s24, s15
	s_mov_b32 s21, s14
	;; [unrolled: 1-line block ×3, first 2 shown]
	s_waitcnt lgkmcnt(0)
	v_cmp_eq_u16_e64 s0, 0x100, s0
	s_delay_alu instid0(VALU_DEP_1)
	s_and_b32 vcc_lo, exec_lo, s0
	s_mov_b32 s0, -1
	s_cbranch_vccnz .LBB95_2
; %bb.1:
	s_add_u32 s8, s22, 0x58
	s_addc_u32 s9, s23, 0
	s_getpc_b64 s[0:1]
	s_add_u32 s0, s0, __PRETTY_FUNCTION__._ZN10amd_detail9transformIifLb0ELb0ELb1ELj16ELj16ELj4EEEvPT_PKS1_S4_T0_PKS5_S5_S7_jjjjjjbb@rel32@lo+4
	s_addc_u32 s1, s1, __PRETTY_FUNCTION__._ZN10amd_detail9transformIifLb0ELb0ELb1ELj16ELj16ELj4EEEvPT_PKS1_S4_T0_PKS5_S5_S7_jjjjjjbb@rel32@hi+12
	s_delay_alu instid0(SALU_CYCLE_1) | instskip(SKIP_3) | instid1(SALU_CYCLE_1)
	v_dual_mov_b32 v0, s0 :: v_dual_mov_b32 v1, s1
	s_getpc_b64 s[2:3]
	s_add_u32 s2, s2, __assert_fail@rel32@lo+4
	s_addc_u32 s3, s3, __assert_fail@rel32@hi+12
	s_swappc_b64 s[30:31], s[2:3]
	; divergent unreachable
	s_mov_b32 s0, 0
.LBB95_2:
	s_delay_alu instid0(SALU_CYCLE_1)
	s_and_not1_b32 vcc_lo, exec_lo, s0
	s_cbranch_vccnz .LBB95_55
; %bb.3:
	s_load_b128 s[0:3], s[22:23], 0x38
	s_waitcnt lgkmcnt(0)
	s_and_b32 s4, s0, 15
	s_lshr_b32 s5, s0, 4
	s_cmp_lg_u32 s4, 0
	s_cselect_b32 s4, -1, 0
	s_delay_alu instid0(SALU_CYCLE_1) | instskip(SKIP_4) | instid1(VALU_DEP_1)
	s_cmp_lg_u32 s4, 0
	s_addc_u32 s6, s5, 0
	s_load_b64 s[4:5], s[22:23], 0x20
	v_cvt_f32_u32_e32 v0, s6
	s_sub_i32 s8, 0, s6
	v_rcp_iflag_f32_e32 v0, v0
	s_waitcnt_depctr 0xfff
	v_mul_f32_e32 v0, 0x4f7ffffe, v0
	s_delay_alu instid0(VALU_DEP_1) | instskip(NEXT) | instid1(VALU_DEP_1)
	v_cvt_u32_f32_e32 v0, v0
	v_readfirstlane_b32 s7, v0
	s_delay_alu instid0(VALU_DEP_1) | instskip(NEXT) | instid1(SALU_CYCLE_1)
	s_mul_i32 s8, s8, s7
	s_mul_hi_u32 s8, s7, s8
	s_delay_alu instid0(SALU_CYCLE_1)
	s_add_i32 s7, s7, s8
	s_waitcnt lgkmcnt(0)
	s_cmp_eq_u64 s[4:5], 0
	s_mul_hi_u32 s7, s21, s7
	s_cbranch_scc1 .LBB95_6
; %bb.4:
	s_load_b32 s15, s[4:5], 0x0
	s_load_b64 s[4:5], s[22:23], 0x30
	s_waitcnt lgkmcnt(0)
	s_cmp_eq_u64 s[4:5], 0
	s_cbranch_scc1 .LBB95_7
.LBB95_5:
	s_load_b32 s16, s[4:5], 0x0
	s_branch .LBB95_8
.LBB95_6:
	s_clause 0x1
	s_load_b32 s15, s[22:23], 0x18
	s_load_b64 s[4:5], s[22:23], 0x30
	s_waitcnt lgkmcnt(0)
	s_cmp_eq_u64 s[4:5], 0
	s_cbranch_scc0 .LBB95_5
.LBB95_7:
	s_load_b32 s16, s[22:23], 0x28
.LBB95_8:
	s_mul_i32 s4, s7, s6
	s_add_i32 s5, s7, 1
	s_sub_i32 s4, s21, s4
	v_and_b32_e32 v9, 15, v41
	s_sub_i32 s8, s4, s6
	s_cmp_ge_u32 s4, s6
	s_cselect_b32 s5, s5, s7
	s_cselect_b32 s4, s8, s4
	s_add_i32 s7, s5, 1
	s_cmp_ge_u32 s4, s6
	s_cselect_b32 s12, s7, s5
	s_delay_alu instid0(SALU_CYCLE_1) | instskip(NEXT) | instid1(SALU_CYCLE_1)
	s_mul_i32 s14, s12, s6
	s_sub_i32 s4, s21, s14
	s_delay_alu instid0(SALU_CYCLE_1) | instskip(NEXT) | instid1(VALU_DEP_1)
	v_lshl_or_b32 v0, s4, 4, v9
	v_cmp_gt_u32_e32 vcc_lo, s0, v0
	s_and_saveexec_b32 s0, vcc_lo
	s_cbranch_execz .LBB95_55
; %bb.9:
	v_lshrrev_b32_e32 v1, 2, v41
	s_clause 0x1
	s_load_b128 s[8:11], s[22:23], 0x48
	s_load_b128 s[4:7], s[22:23], 0x0
	s_waitcnt lgkmcnt(0)
	s_lshl_b32 s11, s12, 6
	s_load_b64 s[12:13], s[22:23], 0x10
	v_dual_mov_b32 v5, 0 :: v_dual_and_b32 v10, 0xfc, v1
	v_mov_b32_e32 v4, 0
	s_delay_alu instid0(VALU_DEP_2) | instskip(NEXT) | instid1(VALU_DEP_1)
	v_add_nc_u32_e32 v8, s11, v10
	v_add_nc_u32_e32 v11, 4, v8
	v_mad_u64_u32 v[1:2], null, v0, s2, v[8:9]
	s_bitcmp1_b32 s10, 0
	s_delay_alu instid0(VALU_DEP_2)
	v_sub_nc_u32_e64 v12, v11, s1 clamp
	s_cselect_b32 vcc_lo, -1, 0
	s_cmp_lg_u64 s[6:7], 0
	s_mul_i32 s24, s24, s9
	s_cselect_b32 s10, -1, 0
	v_sub_nc_u32_e32 v13, v8, v12
	v_sub_nc_u32_e32 v6, v1, v12
	s_cmp_eq_u64 s[6:7], 0
	s_cbranch_scc1 .LBB95_11
; %bb.10:
	s_delay_alu instid0(VALU_DEP_2) | instskip(NEXT) | instid1(VALU_DEP_1)
	v_mad_u64_u32 v[1:2], null, v13, s2, v[0:1]
	v_dual_mov_b32 v2, 0 :: v_dual_cndmask_b32 v1, v1, v6
	s_delay_alu instid0(VALU_DEP_1) | instskip(NEXT) | instid1(VALU_DEP_1)
	v_add_nc_u32_e32 v1, s24, v1
	v_lshlrev_b64 v[1:2], 2, v[1:2]
	s_delay_alu instid0(VALU_DEP_1) | instskip(NEXT) | instid1(VALU_DEP_1)
	v_add_co_u32 v1, s0, s6, v1
	v_add_co_ci_u32_e64 v2, s0, s7, v2, s0
	global_load_b32 v1, v[1:2], off
	s_waitcnt vmcnt(0)
	v_cvt_f32_i32_e32 v4, v1
.LBB95_11:
	s_load_b32 s0, s[22:23], 0x50
	v_mad_u64_u32 v[1:2], null, v0, s3, v[8:9]
	s_xor_b32 s17, vcc_lo, -1
	s_delay_alu instid0(VALU_DEP_1)
	v_sub_nc_u32_e32 v7, v1, v12
	s_waitcnt lgkmcnt(0)
	s_bitcmp1_b32 s0, 8
	s_cselect_b32 s0, -1, 0
	s_cmp_lg_u64 s[12:13], 0
	s_cselect_b32 s9, -1, 0
	s_cmp_eq_u64 s[12:13], 0
	s_cbranch_scc1 .LBB95_13
; %bb.12:
	v_mad_u64_u32 v[1:2], null, v13, s3, v[0:1]
	s_delay_alu instid0(VALU_DEP_1) | instskip(NEXT) | instid1(VALU_DEP_1)
	v_cndmask_b32_e64 v1, v1, v7, s0
	v_dual_mov_b32 v2, 0 :: v_dual_add_nc_u32 v1, s24, v1
	s_delay_alu instid0(VALU_DEP_1) | instskip(NEXT) | instid1(VALU_DEP_1)
	v_lshlrev_b64 v[1:2], 2, v[1:2]
	v_add_co_u32 v1, vcc_lo, s12, v1
	s_delay_alu instid0(VALU_DEP_2)
	v_add_co_ci_u32_e32 v2, vcc_lo, s13, v2, vcc_lo
	global_load_b32 v1, v[1:2], off
	s_waitcnt vmcnt(0)
	v_cvt_f32_i32_e32 v5, v1
.LBB95_13:
	v_cndmask_b32_e64 v16, 0, 1, s17
	s_and_not1_b32 vcc_lo, exec_lo, s17
	s_cbranch_vccnz .LBB95_15
; %bb.14:
	v_mul_lo_u32 v1, s2, v13
	s_delay_alu instid0(VALU_DEP_1)
	v_add3_u32 v1, v1, s2, v0
	s_xor_b32 s0, s0, -1
	s_cbranch_execz .LBB95_16
	s_branch .LBB95_17
.LBB95_15:
                                        ; implicit-def: $vgpr1
	s_xor_b32 s0, s0, -1
.LBB95_16:
	v_add_nc_u32_e32 v1, 1, v6
.LBB95_17:
	v_cndmask_b32_e64 v17, 0, 1, s0
	s_and_not1_b32 vcc_lo, exec_lo, s0
	s_cbranch_vccnz .LBB95_19
; %bb.18:
	v_mul_lo_u32 v2, s3, v13
	s_delay_alu instid0(VALU_DEP_1)
	v_add3_u32 v2, v2, s3, v0
	s_cbranch_execz .LBB95_20
	s_branch .LBB95_21
.LBB95_19:
                                        ; implicit-def: $vgpr2
.LBB95_20:
	v_add_nc_u32_e32 v2, 1, v7
.LBB95_21:
	v_cndmask_b32_e64 v18, 0, 1, s10
	v_dual_mov_b32 v15, 0 :: v_dual_mov_b32 v14, 0
	s_and_not1_b32 vcc_lo, exec_lo, s10
	s_cbranch_vccnz .LBB95_23
; %bb.22:
	v_dual_mov_b32 v20, 0 :: v_dual_add_nc_u32 v19, s24, v1
	s_delay_alu instid0(VALU_DEP_1) | instskip(NEXT) | instid1(VALU_DEP_1)
	v_lshlrev_b64 v[19:20], 2, v[19:20]
	v_add_co_u32 v19, vcc_lo, s6, v19
	s_delay_alu instid0(VALU_DEP_2)
	v_add_co_ci_u32_e32 v20, vcc_lo, s7, v20, vcc_lo
	global_load_b32 v1, v[19:20], off
	s_waitcnt vmcnt(0)
	v_cvt_f32_i32_e32 v14, v1
.LBB95_23:
	v_cndmask_b32_e64 v19, 0, 1, s9
	s_and_not1_b32 vcc_lo, exec_lo, s9
	s_cbranch_vccnz .LBB95_25
; %bb.24:
	v_dual_mov_b32 v2, 0 :: v_dual_add_nc_u32 v1, s24, v2
	s_delay_alu instid0(VALU_DEP_1) | instskip(NEXT) | instid1(VALU_DEP_1)
	v_lshlrev_b64 v[1:2], 2, v[1:2]
	v_add_co_u32 v1, vcc_lo, s12, v1
	s_delay_alu instid0(VALU_DEP_2)
	v_add_co_ci_u32_e32 v2, vcc_lo, s13, v2, vcc_lo
	global_load_b32 v1, v[1:2], off
	s_waitcnt vmcnt(0)
	v_cvt_f32_i32_e32 v15, v1
.LBB95_25:
	v_cmp_ne_u32_e32 vcc_lo, 1, v16
	v_add_nc_u32_e32 v20, 2, v13
	s_cbranch_vccnz .LBB95_27
; %bb.26:
	s_delay_alu instid0(VALU_DEP_1)
	v_mad_u64_u32 v[1:2], null, v20, s2, v[0:1]
	s_cbranch_execz .LBB95_28
	s_branch .LBB95_29
.LBB95_27:
                                        ; implicit-def: $vgpr1
.LBB95_28:
	v_add_nc_u32_e32 v1, 2, v6
.LBB95_29:
	v_cmp_ne_u32_e32 vcc_lo, 1, v17
	s_cbranch_vccnz .LBB95_31
; %bb.30:
	s_delay_alu instid0(VALU_DEP_2)
	v_mad_u64_u32 v[2:3], null, v20, s3, v[0:1]
	s_cbranch_execz .LBB95_32
	s_branch .LBB95_33
.LBB95_31:
                                        ; implicit-def: $vgpr2
.LBB95_32:
	v_add_nc_u32_e32 v2, 2, v7
.LBB95_33:
	v_cmp_ne_u32_e32 vcc_lo, 1, v18
	v_dual_mov_b32 v21, 0 :: v_dual_mov_b32 v20, 0
	s_cbranch_vccnz .LBB95_35
; %bb.34:
	v_dual_mov_b32 v23, 0 :: v_dual_add_nc_u32 v22, s24, v1
	s_delay_alu instid0(VALU_DEP_1) | instskip(NEXT) | instid1(VALU_DEP_1)
	v_lshlrev_b64 v[22:23], 2, v[22:23]
	v_add_co_u32 v22, vcc_lo, s6, v22
	s_delay_alu instid0(VALU_DEP_2)
	v_add_co_ci_u32_e32 v23, vcc_lo, s7, v23, vcc_lo
	global_load_b32 v1, v[22:23], off
	s_waitcnt vmcnt(0)
	v_cvt_f32_i32_e32 v20, v1
.LBB95_35:
	v_cmp_ne_u32_e32 vcc_lo, 1, v19
	s_cbranch_vccnz .LBB95_37
; %bb.36:
	v_dual_mov_b32 v2, 0 :: v_dual_add_nc_u32 v1, s24, v2
	s_delay_alu instid0(VALU_DEP_1) | instskip(NEXT) | instid1(VALU_DEP_1)
	v_lshlrev_b64 v[1:2], 2, v[1:2]
	v_add_co_u32 v1, vcc_lo, s12, v1
	s_delay_alu instid0(VALU_DEP_2)
	v_add_co_ci_u32_e32 v2, vcc_lo, s13, v2, vcc_lo
	global_load_b32 v1, v[1:2], off
	s_waitcnt vmcnt(0)
	v_cvt_f32_i32_e32 v21, v1
.LBB95_37:
	v_cmp_ne_u32_e32 vcc_lo, 1, v16
	v_add_nc_u32_e32 v13, 3, v13
	s_cbranch_vccnz .LBB95_39
; %bb.38:
	s_delay_alu instid0(VALU_DEP_1)
	v_mad_u64_u32 v[1:2], null, v13, s2, v[0:1]
	s_cbranch_execz .LBB95_40
	s_branch .LBB95_41
.LBB95_39:
                                        ; implicit-def: $vgpr1
.LBB95_40:
	v_add_nc_u32_e32 v1, 3, v6
.LBB95_41:
	v_cmp_ne_u32_e32 vcc_lo, 1, v17
	s_cbranch_vccnz .LBB95_43
; %bb.42:
	s_delay_alu instid0(VALU_DEP_2)
	v_mad_u64_u32 v[2:3], null, v13, s3, v[0:1]
	s_cbranch_execz .LBB95_44
	s_branch .LBB95_45
.LBB95_43:
                                        ; implicit-def: $vgpr2
.LBB95_44:
	v_add_nc_u32_e32 v2, 3, v7
.LBB95_45:
	v_cmp_ne_u32_e32 vcc_lo, 1, v18
	v_dual_mov_b32 v6, 0 :: v_dual_mov_b32 v3, 0
	s_cbranch_vccnz .LBB95_47
; %bb.46:
	v_dual_mov_b32 v17, 0 :: v_dual_add_nc_u32 v16, s24, v1
	s_delay_alu instid0(VALU_DEP_1) | instskip(NEXT) | instid1(VALU_DEP_1)
	v_lshlrev_b64 v[16:17], 2, v[16:17]
	v_add_co_u32 v16, vcc_lo, s6, v16
	s_delay_alu instid0(VALU_DEP_2)
	v_add_co_ci_u32_e32 v17, vcc_lo, s7, v17, vcc_lo
	global_load_b32 v1, v[16:17], off
	s_waitcnt vmcnt(0)
	v_cvt_f32_i32_e32 v3, v1
.LBB95_47:
	v_cmp_ne_u32_e32 vcc_lo, 1, v19
	s_cbranch_vccnz .LBB95_49
; %bb.48:
	v_dual_mov_b32 v2, 0 :: v_dual_add_nc_u32 v1, s24, v2
	s_delay_alu instid0(VALU_DEP_1) | instskip(NEXT) | instid1(VALU_DEP_1)
	v_lshlrev_b64 v[1:2], 2, v[1:2]
	v_add_co_u32 v1, vcc_lo, s12, v1
	s_delay_alu instid0(VALU_DEP_2)
	v_add_co_ci_u32_e32 v2, vcc_lo, s13, v2, vcc_lo
	global_load_b32 v1, v[1:2], off
	s_waitcnt vmcnt(0)
	v_cvt_f32_i32_e32 v6, v1
.LBB95_49:
	v_dual_mul_f32 v1, s16, v5 :: v_dual_mul_f32 v2, s16, v15
	v_mul_f32_e32 v5, s16, v21
	s_delay_alu instid0(VALU_DEP_3) | instskip(SKIP_1) | instid1(VALU_DEP_3)
	v_mul_f32_e32 v7, s16, v6
	s_mov_b32 s0, exec_lo
	v_dual_fmac_f32 v1, s15, v4 :: v_dual_fmac_f32 v2, s15, v14
	s_delay_alu instid0(VALU_DEP_3) | instskip(NEXT) | instid1(VALU_DEP_3)
	v_fmac_f32_e32 v5, s15, v20
	v_fmac_f32_e32 v7, s15, v3
	s_delay_alu instid0(VALU_DEP_3) | instskip(NEXT) | instid1(VALU_DEP_4)
	v_cvt_i32_f32_e32 v13, v1
	v_cvt_i32_f32_e32 v1, v2
	s_delay_alu instid0(VALU_DEP_4) | instskip(NEXT) | instid1(VALU_DEP_4)
	v_cvt_i32_f32_e32 v6, v5
	v_cvt_i32_f32_e32 v5, v7
	v_cmpx_ge_u32_e64 s1, v11
	s_xor_b32 s0, exec_lo, s0
	s_cbranch_execz .LBB95_51
; %bb.50:
	v_mul_lo_u32 v0, v0, s8
	s_delay_alu instid0(VALU_DEP_1) | instskip(NEXT) | instid1(VALU_DEP_1)
	v_add3_u32 v0, v8, s24, v0
	v_sub_nc_u32_e32 v2, v0, v12
	v_mov_b32_e32 v3, 0
	s_delay_alu instid0(VALU_DEP_2) | instskip(NEXT) | instid1(VALU_DEP_2)
	v_add_nc_u32_e32 v7, 1, v2
	v_lshlrev_b64 v[11:12], 2, v[2:3]
	v_add_nc_u32_e32 v9, 2, v2
	v_add_nc_u32_e32 v2, 3, v2
	v_mov_b32_e32 v8, v3
	v_mov_b32_e32 v10, v3
	v_add_co_u32 v11, vcc_lo, s4, v11
	s_delay_alu instid0(VALU_DEP_3) | instskip(NEXT) | instid1(VALU_DEP_3)
	v_lshlrev_b64 v[7:8], 2, v[7:8]
	v_lshlrev_b64 v[9:10], 2, v[9:10]
	v_add_co_ci_u32_e32 v12, vcc_lo, s5, v12, vcc_lo
	v_lshlrev_b64 v[2:3], 2, v[2:3]
	s_delay_alu instid0(VALU_DEP_4)
	v_add_co_u32 v7, vcc_lo, s4, v7
	v_add_co_ci_u32_e32 v8, vcc_lo, s5, v8, vcc_lo
	v_add_co_u32 v9, vcc_lo, s4, v9
	v_add_co_ci_u32_e32 v10, vcc_lo, s5, v10, vcc_lo
	;; [unrolled: 2-line block ×3, first 2 shown]
	s_clause 0x3
	global_store_b32 v[11:12], v13, off
	global_store_b32 v[7:8], v1, off
	;; [unrolled: 1-line block ×4, first 2 shown]
                                        ; implicit-def: $vgpr0_vgpr1_vgpr2_vgpr3
                                        ; implicit-def: $vgpr4_vgpr5_vgpr6_vgpr7
                                        ; implicit-def: $vgpr9
                                        ; implicit-def: $vgpr10
                                        ; implicit-def: $vgpr8
                                        ; implicit-def: $vgpr11
                                        ; implicit-def: $vgpr12
                                        ; implicit-def: $vgpr13
                                        ; implicit-def: $vgpr2_vgpr3_vgpr4_vgpr5
.LBB95_51:
	s_and_not1_saveexec_b32 s0, s0
	s_cbranch_execz .LBB95_55
; %bb.52:
	v_cmp_gt_u32_e32 vcc_lo, 4, v12
	s_and_b32 exec_lo, exec_lo, vcc_lo
	s_cbranch_execz .LBB95_55
; %bb.53:
	v_lshl_or_b32 v0, s21, 4, v9
	s_lshl_b32 s0, s14, 4
	v_min_u32_e32 v2, s1, v11
	s_add_i32 s11, s11, s24
	s_mov_b32 s1, 0
	v_subrev_nc_u32_e32 v0, s0, v0
	s_delay_alu instid0(VALU_DEP_1) | instskip(SKIP_1) | instid1(VALU_DEP_1)
	v_mul_lo_u32 v3, s8, v0
	v_sub_nc_u32_e32 v0, v8, v2
	v_add_nc_u32_e32 v0, 3, v0
	s_delay_alu instid0(VALU_DEP_3)
	v_add3_u32 v2, s11, v3, v10
	v_mov_b32_e32 v3, 0
	.p2align	6
.LBB95_54:                              ; =>This Inner Loop Header: Depth=1
	s_delay_alu instid0(VALU_DEP_3) | instskip(NEXT) | instid1(VALU_DEP_2)
	v_add_nc_u32_e32 v0, 1, v0
	v_lshlrev_b64 v[7:8], 2, v[2:3]
	v_add_nc_u32_e32 v2, 1, v2
	s_delay_alu instid0(VALU_DEP_3) | instskip(SKIP_3) | instid1(VALU_DEP_2)
	v_cmp_eq_u32_e32 vcc_lo, 1, v0
	v_cmp_eq_u32_e64 s0, 2, v0
	v_cndmask_b32_e32 v4, v13, v1, vcc_lo
	v_cmp_lt_u32_e32 vcc_lo, 2, v0
	v_cndmask_b32_e64 v4, v4, v6, s0
	v_add_co_u32 v7, s0, s4, v7
	s_delay_alu instid0(VALU_DEP_1) | instskip(SKIP_2) | instid1(VALU_DEP_1)
	v_add_co_ci_u32_e64 v8, s0, s5, v8, s0
	v_cmp_eq_u32_e64 s0, 3, v0
	s_or_b32 s1, vcc_lo, s1
	v_cndmask_b32_e64 v4, v4, v5, s0
	global_store_b32 v[7:8], v4, off
	s_and_not1_b32 exec_lo, exec_lo, s1
	s_cbranch_execnz .LBB95_54
.LBB95_55:
	s_endpgm
	.section	.rodata,"a",@progbits
	.p2align	6, 0x0
	.amdhsa_kernel Transform_I32_S_001_16_16_VW_4
		.amdhsa_group_segment_fixed_size 0
		.amdhsa_private_segment_fixed_size 64
		.amdhsa_kernarg_size 344
		.amdhsa_user_sgpr_count 14
		.amdhsa_user_sgpr_dispatch_ptr 0
		.amdhsa_user_sgpr_queue_ptr 0
		.amdhsa_user_sgpr_kernarg_segment_ptr 1
		.amdhsa_user_sgpr_dispatch_id 0
		.amdhsa_user_sgpr_private_segment_size 0
		.amdhsa_wavefront_size32 1
		.amdhsa_uses_dynamic_stack 0
		.amdhsa_enable_private_segment 1
		.amdhsa_system_sgpr_workgroup_id_x 1
		.amdhsa_system_sgpr_workgroup_id_y 0
		.amdhsa_system_sgpr_workgroup_id_z 1
		.amdhsa_system_sgpr_workgroup_info 0
		.amdhsa_system_vgpr_workitem_id 0
		.amdhsa_next_free_vgpr 42
		.amdhsa_next_free_sgpr 34
		.amdhsa_reserve_vcc 1
		.amdhsa_float_round_mode_32 0
		.amdhsa_float_round_mode_16_64 0
		.amdhsa_float_denorm_mode_32 3
		.amdhsa_float_denorm_mode_16_64 3
		.amdhsa_dx10_clamp 1
		.amdhsa_ieee_mode 1
		.amdhsa_fp16_overflow 0
		.amdhsa_workgroup_processor_mode 1
		.amdhsa_memory_ordered 1
		.amdhsa_forward_progress 0
		.amdhsa_shared_vgpr_count 0
		.amdhsa_exception_fp_ieee_invalid_op 0
		.amdhsa_exception_fp_denorm_src 0
		.amdhsa_exception_fp_ieee_div_zero 0
		.amdhsa_exception_fp_ieee_overflow 0
		.amdhsa_exception_fp_ieee_underflow 0
		.amdhsa_exception_fp_ieee_inexact 0
		.amdhsa_exception_int_div_zero 0
	.end_amdhsa_kernel
	.text
.Lfunc_end95:
	.size	Transform_I32_S_001_16_16_VW_4, .Lfunc_end95-Transform_I32_S_001_16_16_VW_4
                                        ; -- End function
	.section	.AMDGPU.csdata,"",@progbits
; Kernel info:
; codeLenInByte = 1844
; NumSgprs: 36
; NumVgprs: 42
; ScratchSize: 64
; MemoryBound: 0
; FloatMode: 240
; IeeeMode: 1
; LDSByteSize: 0 bytes/workgroup (compile time only)
; SGPRBlocks: 4
; VGPRBlocks: 5
; NumSGPRsForWavesPerEU: 36
; NumVGPRsForWavesPerEU: 42
; Occupancy: 16
; WaveLimiterHint : 1
; COMPUTE_PGM_RSRC2:SCRATCH_EN: 1
; COMPUTE_PGM_RSRC2:USER_SGPR: 14
; COMPUTE_PGM_RSRC2:TRAP_HANDLER: 0
; COMPUTE_PGM_RSRC2:TGID_X_EN: 1
; COMPUTE_PGM_RSRC2:TGID_Y_EN: 0
; COMPUTE_PGM_RSRC2:TGID_Z_EN: 1
; COMPUTE_PGM_RSRC2:TIDIG_COMP_CNT: 0
	.text
	.protected	Transform_I32_S_000_16_16_VW_1 ; -- Begin function Transform_I32_S_000_16_16_VW_1
	.globl	Transform_I32_S_000_16_16_VW_1
	.p2align	8
	.type	Transform_I32_S_000_16_16_VW_1,@function
Transform_I32_S_000_16_16_VW_1:         ; @Transform_I32_S_000_16_16_VW_1
; %bb.0:
	s_mov_b64 s[22:23], s[0:1]
	s_load_b32 s0, s[0:1], 0x64
	v_mov_b32_e32 v41, v0
	s_mov_b32 s21, s15
	s_mov_b32 s24, s14
	;; [unrolled: 1-line block ×3, first 2 shown]
	s_waitcnt lgkmcnt(0)
	v_cmp_eq_u16_e64 s0, 0x100, s0
	s_delay_alu instid0(VALU_DEP_1)
	s_and_b32 vcc_lo, exec_lo, s0
	s_mov_b32 s0, -1
	s_cbranch_vccnz .LBB96_2
; %bb.1:
	s_add_u32 s8, s22, 0x58
	s_addc_u32 s9, s23, 0
	s_getpc_b64 s[0:1]
	s_add_u32 s0, s0, __PRETTY_FUNCTION__._ZN10amd_detail9transformIifLb0ELb0ELb0ELj16ELj16ELj1EEEvPT_PKS1_S4_T0_PKS5_S5_S7_jjjjjjbb@rel32@lo+4
	s_addc_u32 s1, s1, __PRETTY_FUNCTION__._ZN10amd_detail9transformIifLb0ELb0ELb0ELj16ELj16ELj1EEEvPT_PKS1_S4_T0_PKS5_S5_S7_jjjjjjbb@rel32@hi+12
	s_delay_alu instid0(SALU_CYCLE_1) | instskip(SKIP_3) | instid1(SALU_CYCLE_1)
	v_dual_mov_b32 v0, s0 :: v_dual_mov_b32 v1, s1
	s_getpc_b64 s[2:3]
	s_add_u32 s2, s2, __assert_fail@rel32@lo+4
	s_addc_u32 s3, s3, __assert_fail@rel32@hi+12
	s_swappc_b64 s[30:31], s[2:3]
	; divergent unreachable
	s_mov_b32 s0, 0
.LBB96_2:
	s_delay_alu instid0(SALU_CYCLE_1)
	s_and_not1_b32 vcc_lo, exec_lo, s0
	s_cbranch_vccnz .LBB96_14
; %bb.3:
	s_load_b256 s[0:7], s[22:23], 0x38
	s_waitcnt lgkmcnt(0)
	s_and_b32 s7, s0, 15
	s_lshr_b32 s8, s0, 4
	s_cmp_lg_u32 s7, 0
	s_cselect_b32 s7, -1, 0
	s_delay_alu instid0(SALU_CYCLE_1) | instskip(SKIP_4) | instid1(VALU_DEP_1)
	s_cmp_lg_u32 s7, 0
	s_addc_u32 s10, s8, 0
	s_load_b64 s[8:9], s[22:23], 0x20
	v_cvt_f32_u32_e32 v0, s10
	s_sub_i32 s11, 0, s10
	v_rcp_iflag_f32_e32 v0, v0
	s_waitcnt_depctr 0xfff
	v_mul_f32_e32 v0, 0x4f7ffffe, v0
	s_delay_alu instid0(VALU_DEP_1) | instskip(NEXT) | instid1(VALU_DEP_1)
	v_cvt_u32_f32_e32 v0, v0
	v_readfirstlane_b32 s7, v0
	s_delay_alu instid0(VALU_DEP_1) | instskip(NEXT) | instid1(SALU_CYCLE_1)
	s_mul_i32 s11, s11, s7
	s_mul_hi_u32 s11, s7, s11
	s_delay_alu instid0(SALU_CYCLE_1)
	s_add_i32 s7, s7, s11
	s_waitcnt lgkmcnt(0)
	s_cmp_eq_u64 s[8:9], 0
	s_mul_hi_u32 s11, s24, s7
	s_cbranch_scc1 .LBB96_6
; %bb.4:
	s_load_b32 s7, s[8:9], 0x0
	s_load_b64 s[8:9], s[22:23], 0x30
	s_waitcnt lgkmcnt(0)
	s_cmp_eq_u64 s[8:9], 0
	s_cbranch_scc1 .LBB96_7
.LBB96_5:
	s_load_b32 s12, s[8:9], 0x0
	s_branch .LBB96_8
.LBB96_6:
	s_clause 0x1
	s_load_b32 s7, s[22:23], 0x18
	s_load_b64 s[8:9], s[22:23], 0x30
	s_waitcnt lgkmcnt(0)
	s_cmp_eq_u64 s[8:9], 0
	s_cbranch_scc0 .LBB96_5
.LBB96_7:
	s_load_b32 s12, s[22:23], 0x28
.LBB96_8:
	s_mul_i32 s8, s11, s10
	s_add_i32 s9, s11, 1
	s_sub_i32 s8, s24, s8
	v_and_b32_e32 v0, 15, v41
	s_sub_i32 s13, s8, s10
	s_cmp_ge_u32 s8, s10
	v_lshrrev_b32_e32 v1, 4, v41
	s_cselect_b32 s9, s9, s11
	s_cselect_b32 s8, s13, s8
	s_add_i32 s11, s9, 1
	s_cmp_ge_u32 s8, s10
	s_cselect_b32 s8, s11, s9
	s_delay_alu instid0(SALU_CYCLE_1) | instskip(SKIP_2) | instid1(SALU_CYCLE_1)
	s_mul_i32 s9, s8, s10
	v_lshl_add_u32 v1, s8, 4, v1
	s_sub_i32 s9, s24, s9
	v_lshl_or_b32 v0, s9, 4, v0
	s_delay_alu instid0(VALU_DEP_1) | instskip(NEXT) | instid1(VALU_DEP_3)
	v_cmp_gt_u32_e32 vcc_lo, s0, v0
	v_cmp_gt_u32_e64 s0, s1, v1
	s_delay_alu instid0(VALU_DEP_1) | instskip(NEXT) | instid1(SALU_CYCLE_1)
	s_and_b32 s0, vcc_lo, s0
	s_and_saveexec_b32 s1, s0
	s_cbranch_execz .LBB96_14
; %bb.9:
	s_clause 0x1
	s_load_b128 s[8:11], s[22:23], 0x0
	s_load_b64 s[0:1], s[22:23], 0x10
	v_dual_mov_b32 v3, 0 :: v_dual_mov_b32 v2, 0
	s_mul_i32 s21, s21, s5
	s_waitcnt lgkmcnt(0)
	s_cmp_eq_u64 s[10:11], 0
	s_cbranch_scc1 .LBB96_11
; %bb.10:
	s_bitcmp1_b32 s6, 0
	v_mov_b32_e32 v5, 0
	s_cselect_b32 vcc_lo, -1, 0
	v_cndmask_b32_e32 v2, v1, v0, vcc_lo
	v_cndmask_b32_e32 v4, v0, v1, vcc_lo
	s_delay_alu instid0(VALU_DEP_2) | instskip(NEXT) | instid1(VALU_DEP_1)
	v_mul_lo_u32 v2, v2, s2
	v_add3_u32 v4, v4, s21, v2
	s_delay_alu instid0(VALU_DEP_1) | instskip(NEXT) | instid1(VALU_DEP_1)
	v_lshlrev_b64 v[4:5], 2, v[4:5]
	v_add_co_u32 v4, vcc_lo, s10, v4
	s_delay_alu instid0(VALU_DEP_2)
	v_add_co_ci_u32_e32 v5, vcc_lo, s11, v5, vcc_lo
	global_load_b32 v2, v[4:5], off
	s_waitcnt vmcnt(0)
	v_cvt_f32_i32_e32 v2, v2
.LBB96_11:
	s_cmp_eq_u64 s[0:1], 0
	s_cbranch_scc1 .LBB96_13
; %bb.12:
	s_load_b32 s2, s[22:23], 0x50
	v_mov_b32_e32 v4, 0
	s_waitcnt lgkmcnt(0)
	s_bitcmp1_b32 s2, 8
	s_cselect_b32 vcc_lo, -1, 0
	v_cndmask_b32_e32 v3, v1, v0, vcc_lo
	v_cndmask_b32_e32 v5, v0, v1, vcc_lo
	s_delay_alu instid0(VALU_DEP_2) | instskip(NEXT) | instid1(VALU_DEP_1)
	v_mul_lo_u32 v3, v3, s3
	v_add3_u32 v3, v5, s21, v3
	s_delay_alu instid0(VALU_DEP_1) | instskip(NEXT) | instid1(VALU_DEP_1)
	v_lshlrev_b64 v[3:4], 2, v[3:4]
	v_add_co_u32 v3, vcc_lo, s0, v3
	s_delay_alu instid0(VALU_DEP_2)
	v_add_co_ci_u32_e32 v4, vcc_lo, s1, v4, vcc_lo
	global_load_b32 v3, v[3:4], off
	s_waitcnt vmcnt(0)
	v_cvt_f32_i32_e32 v3, v3
.LBB96_13:
	v_mul_lo_u32 v4, v1, s4
	v_mov_b32_e32 v1, 0
	s_delay_alu instid0(VALU_DEP_3) | instskip(NEXT) | instid1(VALU_DEP_1)
	v_mul_f32_e32 v3, s12, v3
	v_fmac_f32_e32 v3, s7, v2
	s_delay_alu instid0(VALU_DEP_4) | instskip(NEXT) | instid1(VALU_DEP_2)
	v_add3_u32 v0, v0, s21, v4
	v_cvt_i32_f32_e32 v2, v3
	s_delay_alu instid0(VALU_DEP_2) | instskip(NEXT) | instid1(VALU_DEP_1)
	v_lshlrev_b64 v[0:1], 2, v[0:1]
	v_add_co_u32 v0, vcc_lo, s8, v0
	s_delay_alu instid0(VALU_DEP_2)
	v_add_co_ci_u32_e32 v1, vcc_lo, s9, v1, vcc_lo
	global_store_b32 v[0:1], v2, off
.LBB96_14:
	s_endpgm
	.section	.rodata,"a",@progbits
	.p2align	6, 0x0
	.amdhsa_kernel Transform_I32_S_000_16_16_VW_1
		.amdhsa_group_segment_fixed_size 0
		.amdhsa_private_segment_fixed_size 64
		.amdhsa_kernarg_size 344
		.amdhsa_user_sgpr_count 14
		.amdhsa_user_sgpr_dispatch_ptr 0
		.amdhsa_user_sgpr_queue_ptr 0
		.amdhsa_user_sgpr_kernarg_segment_ptr 1
		.amdhsa_user_sgpr_dispatch_id 0
		.amdhsa_user_sgpr_private_segment_size 0
		.amdhsa_wavefront_size32 1
		.amdhsa_uses_dynamic_stack 0
		.amdhsa_enable_private_segment 1
		.amdhsa_system_sgpr_workgroup_id_x 1
		.amdhsa_system_sgpr_workgroup_id_y 0
		.amdhsa_system_sgpr_workgroup_id_z 1
		.amdhsa_system_sgpr_workgroup_info 0
		.amdhsa_system_vgpr_workitem_id 0
		.amdhsa_next_free_vgpr 42
		.amdhsa_next_free_sgpr 34
		.amdhsa_reserve_vcc 1
		.amdhsa_float_round_mode_32 0
		.amdhsa_float_round_mode_16_64 0
		.amdhsa_float_denorm_mode_32 3
		.amdhsa_float_denorm_mode_16_64 3
		.amdhsa_dx10_clamp 1
		.amdhsa_ieee_mode 1
		.amdhsa_fp16_overflow 0
		.amdhsa_workgroup_processor_mode 1
		.amdhsa_memory_ordered 1
		.amdhsa_forward_progress 0
		.amdhsa_shared_vgpr_count 0
		.amdhsa_exception_fp_ieee_invalid_op 0
		.amdhsa_exception_fp_denorm_src 0
		.amdhsa_exception_fp_ieee_div_zero 0
		.amdhsa_exception_fp_ieee_overflow 0
		.amdhsa_exception_fp_ieee_underflow 0
		.amdhsa_exception_fp_ieee_inexact 0
		.amdhsa_exception_int_div_zero 0
	.end_amdhsa_kernel
	.text
.Lfunc_end96:
	.size	Transform_I32_S_000_16_16_VW_1, .Lfunc_end96-Transform_I32_S_000_16_16_VW_1
                                        ; -- End function
	.section	.AMDGPU.csdata,"",@progbits
; Kernel info:
; codeLenInByte = 764
; NumSgprs: 36
; NumVgprs: 42
; ScratchSize: 64
; MemoryBound: 0
; FloatMode: 240
; IeeeMode: 1
; LDSByteSize: 0 bytes/workgroup (compile time only)
; SGPRBlocks: 4
; VGPRBlocks: 5
; NumSGPRsForWavesPerEU: 36
; NumVGPRsForWavesPerEU: 42
; Occupancy: 16
; WaveLimiterHint : 1
; COMPUTE_PGM_RSRC2:SCRATCH_EN: 1
; COMPUTE_PGM_RSRC2:USER_SGPR: 14
; COMPUTE_PGM_RSRC2:TRAP_HANDLER: 0
; COMPUTE_PGM_RSRC2:TGID_X_EN: 1
; COMPUTE_PGM_RSRC2:TGID_Y_EN: 0
; COMPUTE_PGM_RSRC2:TGID_Z_EN: 1
; COMPUTE_PGM_RSRC2:TIDIG_COMP_CNT: 0
	.text
	.protected	Transform_I32_S_000_16_16_VW_4 ; -- Begin function Transform_I32_S_000_16_16_VW_4
	.globl	Transform_I32_S_000_16_16_VW_4
	.p2align	8
	.type	Transform_I32_S_000_16_16_VW_4,@function
Transform_I32_S_000_16_16_VW_4:         ; @Transform_I32_S_000_16_16_VW_4
; %bb.0:
	s_mov_b64 s[22:23], s[0:1]
	s_load_b32 s0, s[0:1], 0x64
	v_mov_b32_e32 v41, v0
	s_mov_b32 s24, s15
	s_mov_b32 s21, s14
	s_mov_b32 s32, 0
	s_waitcnt lgkmcnt(0)
	v_cmp_eq_u16_e64 s0, 0x100, s0
	s_delay_alu instid0(VALU_DEP_1)
	s_and_b32 vcc_lo, exec_lo, s0
	s_mov_b32 s0, -1
	s_cbranch_vccnz .LBB97_2
; %bb.1:
	s_add_u32 s8, s22, 0x58
	s_addc_u32 s9, s23, 0
	s_getpc_b64 s[0:1]
	s_add_u32 s0, s0, __PRETTY_FUNCTION__._ZN10amd_detail9transformIifLb0ELb0ELb0ELj16ELj16ELj4EEEvPT_PKS1_S4_T0_PKS5_S5_S7_jjjjjjbb@rel32@lo+4
	s_addc_u32 s1, s1, __PRETTY_FUNCTION__._ZN10amd_detail9transformIifLb0ELb0ELb0ELj16ELj16ELj4EEEvPT_PKS1_S4_T0_PKS5_S5_S7_jjjjjjbb@rel32@hi+12
	s_delay_alu instid0(SALU_CYCLE_1) | instskip(SKIP_3) | instid1(SALU_CYCLE_1)
	v_dual_mov_b32 v0, s0 :: v_dual_mov_b32 v1, s1
	s_getpc_b64 s[2:3]
	s_add_u32 s2, s2, __assert_fail@rel32@lo+4
	s_addc_u32 s3, s3, __assert_fail@rel32@hi+12
	s_swappc_b64 s[30:31], s[2:3]
	; divergent unreachable
	s_mov_b32 s0, 0
.LBB97_2:
	s_delay_alu instid0(SALU_CYCLE_1)
	s_and_not1_b32 vcc_lo, exec_lo, s0
	s_cbranch_vccnz .LBB97_55
; %bb.3:
	s_load_b256 s[4:11], s[22:23], 0x38
	s_waitcnt lgkmcnt(0)
	s_and_b32 s0, s4, 63
	s_lshr_b32 s1, s4, 6
	s_cmp_lg_u32 s0, 0
	s_cselect_b32 s0, -1, 0
	s_delay_alu instid0(SALU_CYCLE_1) | instskip(SKIP_4) | instid1(VALU_DEP_1)
	s_cmp_lg_u32 s0, 0
	s_addc_u32 s2, s1, 0
	s_load_b64 s[0:1], s[22:23], 0x20
	v_cvt_f32_u32_e32 v0, s2
	s_sub_i32 s11, 0, s2
	v_rcp_iflag_f32_e32 v0, v0
	s_waitcnt_depctr 0xfff
	v_mul_f32_e32 v0, 0x4f7ffffe, v0
	s_delay_alu instid0(VALU_DEP_1) | instskip(NEXT) | instid1(VALU_DEP_1)
	v_cvt_u32_f32_e32 v0, v0
	v_readfirstlane_b32 s3, v0
	s_delay_alu instid0(VALU_DEP_1) | instskip(NEXT) | instid1(SALU_CYCLE_1)
	s_mul_i32 s11, s11, s3
	s_mul_hi_u32 s11, s3, s11
	s_delay_alu instid0(SALU_CYCLE_1)
	s_add_i32 s3, s3, s11
	s_waitcnt lgkmcnt(0)
	s_cmp_eq_u64 s[0:1], 0
	s_mul_hi_u32 s3, s21, s3
	s_cbranch_scc1 .LBB97_6
; %bb.4:
	s_load_b32 s11, s[0:1], 0x0
	s_load_b64 s[0:1], s[22:23], 0x30
	s_waitcnt lgkmcnt(0)
	s_cmp_eq_u64 s[0:1], 0
	s_cbranch_scc1 .LBB97_7
.LBB97_5:
	s_load_b32 s16, s[0:1], 0x0
	s_branch .LBB97_8
.LBB97_6:
	s_clause 0x1
	s_load_b32 s11, s[22:23], 0x18
	s_load_b64 s[0:1], s[22:23], 0x30
	s_waitcnt lgkmcnt(0)
	s_cmp_eq_u64 s[0:1], 0
	s_cbranch_scc0 .LBB97_5
.LBB97_7:
	s_load_b32 s16, s[22:23], 0x28
.LBB97_8:
	s_mul_i32 s0, s3, s2
	s_add_i32 s1, s3, 1
	s_sub_i32 s0, s21, s0
	v_lshrrev_b32_e32 v0, 4, v41
	s_sub_i32 s12, s0, s2
	s_cmp_ge_u32 s0, s2
	s_cselect_b32 s1, s1, s3
	s_cselect_b32 s0, s12, s0
	s_add_i32 s3, s1, 1
	s_cmp_ge_u32 s0, s2
	s_mov_b32 s0, exec_lo
	s_cselect_b32 s1, s3, s1
	s_delay_alu instid0(SALU_CYCLE_1) | instskip(NEXT) | instid1(VALU_DEP_1)
	v_lshl_add_u32 v0, s1, 4, v0
	v_cmpx_gt_u32_e64 s5, v0
	s_cbranch_execz .LBB97_55
; %bb.9:
	v_dual_mov_b32 v6, 0 :: v_dual_lshlrev_b32 v1, 2, v41
	s_mul_i32 s1, s1, s2
	s_clause 0x1
	s_load_b128 s[12:15], s[22:23], 0x0
	s_load_b64 s[2:3], s[22:23], 0x10
	v_dual_mov_b32 v11, 0 :: v_dual_and_b32 v8, 60, v1
	s_sub_i32 s0, s21, s1
	s_bitcmp1_b32 s10, 0
	s_mul_i32 s24, s24, s9
	s_delay_alu instid0(VALU_DEP_1) | instskip(SKIP_1) | instid1(VALU_DEP_1)
	v_lshl_or_b32 v7, s0, 6, v8
	s_cselect_b32 vcc_lo, -1, 0
	v_add_nc_u32_e32 v10, 4, v7
	s_delay_alu instid0(VALU_DEP_1) | instskip(SKIP_3) | instid1(VALU_DEP_1)
	v_sub_nc_u32_e64 v9, v10, s4 clamp
	s_waitcnt lgkmcnt(0)
	s_cmp_lg_u64 s[14:15], 0
	s_cselect_b32 s5, -1, 0
	v_sub_nc_u32_e32 v1, v7, v9
	s_cmp_eq_u64 s[14:15], 0
	s_delay_alu instid0(VALU_DEP_1)
	v_mad_u64_u32 v[2:3], null, v0, s6, v[1:2]
	s_cbranch_scc1 .LBB97_11
; %bb.10:
	v_mad_u64_u32 v[3:4], null, v1, s6, v[0:1]
	s_delay_alu instid0(VALU_DEP_1) | instskip(NEXT) | instid1(VALU_DEP_1)
	v_dual_mov_b32 v4, 0 :: v_dual_cndmask_b32 v3, v2, v3
	v_add_nc_u32_e32 v3, s24, v3
	s_delay_alu instid0(VALU_DEP_1) | instskip(NEXT) | instid1(VALU_DEP_1)
	v_lshlrev_b64 v[3:4], 2, v[3:4]
	v_add_co_u32 v3, s0, s14, v3
	s_delay_alu instid0(VALU_DEP_1)
	v_add_co_ci_u32_e64 v4, s0, s15, v4, s0
	global_load_b32 v3, v[3:4], off
	s_waitcnt vmcnt(0)
	v_cvt_f32_i32_e32 v6, v3
.LBB97_11:
	s_load_b32 s0, s[22:23], 0x50
	s_delay_alu instid0(VALU_DEP_1)
	v_mad_u64_u32 v[3:4], null, v0, s7, v[1:2]
	v_mul_lo_u32 v12, v1, s7
	s_xor_b32 s10, vcc_lo, -1
	s_waitcnt lgkmcnt(0)
	s_bitcmp1_b32 s0, 8
	s_cselect_b32 s0, -1, 0
	s_cmp_lg_u64 s[2:3], 0
	s_cselect_b32 s9, -1, 0
	s_cmp_eq_u64 s[2:3], 0
	s_cbranch_scc1 .LBB97_13
; %bb.12:
	v_dual_mov_b32 v5, 0 :: v_dual_add_nc_u32 v4, v12, v0
	s_delay_alu instid0(VALU_DEP_1) | instskip(NEXT) | instid1(VALU_DEP_1)
	v_cndmask_b32_e64 v4, v3, v4, s0
	v_add_nc_u32_e32 v4, s24, v4
	s_delay_alu instid0(VALU_DEP_1) | instskip(NEXT) | instid1(VALU_DEP_1)
	v_lshlrev_b64 v[4:5], 2, v[4:5]
	v_add_co_u32 v4, vcc_lo, s2, v4
	s_delay_alu instid0(VALU_DEP_2)
	v_add_co_ci_u32_e32 v5, vcc_lo, s3, v5, vcc_lo
	global_load_b32 v4, v[4:5], off
	s_waitcnt vmcnt(0)
	v_cvt_f32_i32_e32 v11, v4
.LBB97_13:
	v_cndmask_b32_e64 v15, 0, 1, s10
	s_and_not1_b32 vcc_lo, exec_lo, s10
	s_cbranch_vccnz .LBB97_15
; %bb.14:
	v_add_nc_u32_e32 v4, 1, v2
	s_xor_b32 s0, s0, -1
	s_cbranch_execz .LBB97_16
	s_branch .LBB97_17
.LBB97_15:
                                        ; implicit-def: $vgpr4
	s_xor_b32 s0, s0, -1
.LBB97_16:
	v_mul_lo_u32 v4, s6, v1
	s_delay_alu instid0(VALU_DEP_1)
	v_add3_u32 v4, v4, s6, v0
.LBB97_17:
	v_cndmask_b32_e64 v16, 0, 1, s0
	s_and_not1_b32 vcc_lo, exec_lo, s0
	s_cbranch_vccnz .LBB97_19
; %bb.18:
	v_add_nc_u32_e32 v5, 1, v3
	s_cbranch_execz .LBB97_20
	s_branch .LBB97_21
.LBB97_19:
                                        ; implicit-def: $vgpr5
.LBB97_20:
	v_add3_u32 v5, v12, s7, v0
.LBB97_21:
	v_cndmask_b32_e64 v17, 0, 1, s5
	v_dual_mov_b32 v14, 0 :: v_dual_mov_b32 v13, 0
	s_and_not1_b32 vcc_lo, exec_lo, s5
	s_cbranch_vccnz .LBB97_23
; %bb.22:
	v_dual_mov_b32 v19, 0 :: v_dual_add_nc_u32 v18, s24, v4
	s_delay_alu instid0(VALU_DEP_1) | instskip(NEXT) | instid1(VALU_DEP_1)
	v_lshlrev_b64 v[18:19], 2, v[18:19]
	v_add_co_u32 v18, vcc_lo, s14, v18
	s_delay_alu instid0(VALU_DEP_2)
	v_add_co_ci_u32_e32 v19, vcc_lo, s15, v19, vcc_lo
	global_load_b32 v4, v[18:19], off
	s_waitcnt vmcnt(0)
	v_cvt_f32_i32_e32 v13, v4
.LBB97_23:
	v_cndmask_b32_e64 v18, 0, 1, s9
	s_and_not1_b32 vcc_lo, exec_lo, s9
	s_cbranch_vccnz .LBB97_25
; %bb.24:
	v_dual_mov_b32 v5, 0 :: v_dual_add_nc_u32 v4, s24, v5
	s_delay_alu instid0(VALU_DEP_1) | instskip(NEXT) | instid1(VALU_DEP_1)
	v_lshlrev_b64 v[4:5], 2, v[4:5]
	v_add_co_u32 v4, vcc_lo, s2, v4
	s_delay_alu instid0(VALU_DEP_2)
	v_add_co_ci_u32_e32 v5, vcc_lo, s3, v5, vcc_lo
	global_load_b32 v4, v[4:5], off
	s_waitcnt vmcnt(0)
	v_cvt_f32_i32_e32 v14, v4
.LBB97_25:
	v_cmp_ne_u32_e32 vcc_lo, 1, v15
	s_cbranch_vccnz .LBB97_27
; %bb.26:
	v_add_nc_u32_e32 v4, 2, v2
	s_cbranch_execz .LBB97_28
	s_branch .LBB97_29
.LBB97_27:
                                        ; implicit-def: $vgpr4
.LBB97_28:
	v_add_nc_u32_e32 v19, 2, v1
	s_delay_alu instid0(VALU_DEP_1)
	v_mad_u64_u32 v[4:5], null, v19, s6, v[0:1]
.LBB97_29:
	v_cmp_ne_u32_e32 vcc_lo, 1, v16
	s_cbranch_vccnz .LBB97_31
; %bb.30:
	v_add_nc_u32_e32 v5, 2, v3
	s_cbranch_execz .LBB97_32
	s_branch .LBB97_33
.LBB97_31:
                                        ; implicit-def: $vgpr5
.LBB97_32:
	s_lshl_b32 s0, s7, 1
	s_delay_alu instid0(SALU_CYCLE_1)
	v_add3_u32 v5, v12, s0, v0
.LBB97_33:
	v_cmp_ne_u32_e32 vcc_lo, 1, v17
	v_dual_mov_b32 v20, 0 :: v_dual_mov_b32 v19, 0
	s_cbranch_vccnz .LBB97_35
; %bb.34:
	v_dual_mov_b32 v22, 0 :: v_dual_add_nc_u32 v21, s24, v4
	s_delay_alu instid0(VALU_DEP_1) | instskip(NEXT) | instid1(VALU_DEP_1)
	v_lshlrev_b64 v[21:22], 2, v[21:22]
	v_add_co_u32 v21, vcc_lo, s14, v21
	s_delay_alu instid0(VALU_DEP_2)
	v_add_co_ci_u32_e32 v22, vcc_lo, s15, v22, vcc_lo
	global_load_b32 v4, v[21:22], off
	s_waitcnt vmcnt(0)
	v_cvt_f32_i32_e32 v19, v4
.LBB97_35:
	v_cmp_ne_u32_e32 vcc_lo, 1, v18
	s_cbranch_vccnz .LBB97_37
; %bb.36:
	v_dual_mov_b32 v5, 0 :: v_dual_add_nc_u32 v4, s24, v5
	s_delay_alu instid0(VALU_DEP_1) | instskip(NEXT) | instid1(VALU_DEP_1)
	v_lshlrev_b64 v[4:5], 2, v[4:5]
	v_add_co_u32 v4, vcc_lo, s2, v4
	s_delay_alu instid0(VALU_DEP_2)
	v_add_co_ci_u32_e32 v5, vcc_lo, s3, v5, vcc_lo
	global_load_b32 v4, v[4:5], off
	s_waitcnt vmcnt(0)
	v_cvt_f32_i32_e32 v20, v4
.LBB97_37:
	v_cmp_ne_u32_e32 vcc_lo, 1, v15
	s_cbranch_vccnz .LBB97_39
; %bb.38:
	v_add_nc_u32_e32 v4, 3, v2
	s_cbranch_execz .LBB97_40
	s_branch .LBB97_41
.LBB97_39:
                                        ; implicit-def: $vgpr4
.LBB97_40:
	v_add_nc_u32_e32 v1, 3, v1
	s_delay_alu instid0(VALU_DEP_1)
	v_mad_u64_u32 v[4:5], null, v1, s6, v[0:1]
.LBB97_41:
	v_cmp_ne_u32_e32 vcc_lo, 1, v16
	s_cbranch_vccnz .LBB97_43
; %bb.42:
	v_add_nc_u32_e32 v1, 3, v3
	s_cbranch_execz .LBB97_44
	s_branch .LBB97_45
.LBB97_43:
                                        ; implicit-def: $vgpr1
.LBB97_44:
	s_mul_i32 s0, s7, 3
	s_delay_alu instid0(SALU_CYCLE_1)
	v_add3_u32 v1, v12, s0, v0
.LBB97_45:
	v_cmp_ne_u32_e32 vcc_lo, 1, v17
	v_dual_mov_b32 v3, 0 :: v_dual_mov_b32 v2, 0
	s_cbranch_vccnz .LBB97_47
; %bb.46:
	v_dual_mov_b32 v5, 0 :: v_dual_add_nc_u32 v4, s24, v4
	s_delay_alu instid0(VALU_DEP_1) | instskip(NEXT) | instid1(VALU_DEP_1)
	v_lshlrev_b64 v[4:5], 2, v[4:5]
	v_add_co_u32 v4, vcc_lo, s14, v4
	s_delay_alu instid0(VALU_DEP_2)
	v_add_co_ci_u32_e32 v5, vcc_lo, s15, v5, vcc_lo
	global_load_b32 v2, v[4:5], off
	s_waitcnt vmcnt(0)
	v_cvt_f32_i32_e32 v2, v2
.LBB97_47:
	v_cmp_ne_u32_e32 vcc_lo, 1, v18
	s_cbranch_vccnz .LBB97_49
; %bb.48:
	v_dual_mov_b32 v4, 0 :: v_dual_add_nc_u32 v3, s24, v1
	s_delay_alu instid0(VALU_DEP_1) | instskip(NEXT) | instid1(VALU_DEP_1)
	v_lshlrev_b64 v[3:4], 2, v[3:4]
	v_add_co_u32 v3, vcc_lo, s2, v3
	s_delay_alu instid0(VALU_DEP_2)
	v_add_co_ci_u32_e32 v4, vcc_lo, s3, v4, vcc_lo
	global_load_b32 v1, v[3:4], off
	s_waitcnt vmcnt(0)
	v_cvt_f32_i32_e32 v3, v1
.LBB97_49:
	v_dual_mul_f32 v1, s16, v11 :: v_dual_mul_f32 v4, s16, v14
	v_mul_f32_e32 v5, s16, v20
	s_delay_alu instid0(VALU_DEP_3) | instskip(SKIP_1) | instid1(VALU_DEP_4)
	v_mul_f32_e32 v3, s16, v3
	v_mul_lo_u32 v12, v0, s8
	v_dual_fmac_f32 v1, s11, v6 :: v_dual_fmac_f32 v4, s11, v13
	s_delay_alu instid0(VALU_DEP_4) | instskip(NEXT) | instid1(VALU_DEP_4)
	v_fmac_f32_e32 v5, s11, v19
	v_fmac_f32_e32 v3, s11, v2
	s_mov_b32 s0, exec_lo
	s_delay_alu instid0(VALU_DEP_3)
	v_cvt_i32_f32_e32 v11, v1
	v_cvt_i32_f32_e32 v1, v4
	v_cvt_i32_f32_e32 v6, v5
	v_cvt_i32_f32_e32 v5, v3
	v_cmpx_ge_u32_e64 s4, v10
	s_xor_b32 s0, exec_lo, s0
	s_cbranch_execz .LBB97_51
; %bb.50:
	v_dual_mov_b32 v3, 0 :: v_dual_add_nc_u32 v0, s24, v7
	s_delay_alu instid0(VALU_DEP_1) | instskip(NEXT) | instid1(VALU_DEP_1)
	v_sub_nc_u32_e32 v0, v0, v9
	v_add_nc_u32_e32 v2, v0, v12
	s_delay_alu instid0(VALU_DEP_3) | instskip(NEXT) | instid1(VALU_DEP_2)
	v_mov_b32_e32 v8, v3
	v_dual_mov_b32 v10, v3 :: v_dual_add_nc_u32 v9, 2, v2
	v_add_nc_u32_e32 v7, 1, v2
	v_lshlrev_b64 v[12:13], 2, v[2:3]
	v_add_nc_u32_e32 v2, 3, v2
	s_delay_alu instid0(VALU_DEP_4) | instskip(NEXT) | instid1(VALU_DEP_4)
	v_lshlrev_b64 v[9:10], 2, v[9:10]
	v_lshlrev_b64 v[7:8], 2, v[7:8]
	s_delay_alu instid0(VALU_DEP_4) | instskip(SKIP_2) | instid1(VALU_DEP_4)
	v_add_co_u32 v12, vcc_lo, s12, v12
	v_add_co_ci_u32_e32 v13, vcc_lo, s13, v13, vcc_lo
	v_lshlrev_b64 v[2:3], 2, v[2:3]
	v_add_co_u32 v7, vcc_lo, s12, v7
	v_add_co_ci_u32_e32 v8, vcc_lo, s13, v8, vcc_lo
	v_add_co_u32 v9, vcc_lo, s12, v9
	v_add_co_ci_u32_e32 v10, vcc_lo, s13, v10, vcc_lo
	;; [unrolled: 2-line block ×3, first 2 shown]
	s_clause 0x3
	global_store_b32 v[12:13], v11, off
	global_store_b32 v[7:8], v1, off
	;; [unrolled: 1-line block ×4, first 2 shown]
                                        ; implicit-def: $vgpr0_vgpr1_vgpr2_vgpr3
                                        ; implicit-def: $vgpr4_vgpr5_vgpr6_vgpr7
                                        ; implicit-def: $vgpr9
                                        ; implicit-def: $vgpr11
                                        ; implicit-def: $vgpr8
                                        ; implicit-def: $vgpr12
                                        ; implicit-def: $vgpr2_vgpr3_vgpr4_vgpr5
.LBB97_51:
	s_and_not1_saveexec_b32 s0, s0
	s_cbranch_execz .LBB97_55
; %bb.52:
	v_cmp_gt_u32_e32 vcc_lo, 4, v9
	s_and_b32 exec_lo, exec_lo, vcc_lo
	s_cbranch_execz .LBB97_55
; %bb.53:
	v_lshl_or_b32 v0, s21, 6, v8
	s_lshl_b32 s0, s1, 6
	s_mov_b32 s1, 0
	s_delay_alu instid0(VALU_DEP_1) | instskip(SKIP_1) | instid1(VALU_DEP_2)
	v_subrev_nc_u32_e32 v2, s0, v0
	v_add3_u32 v0, s24, v12, v0
	v_add_nc_u32_e32 v3, 4, v2
	s_delay_alu instid0(VALU_DEP_1) | instskip(NEXT) | instid1(VALU_DEP_1)
	v_min_u32_e32 v3, s4, v3
	v_sub_nc_u32_e32 v3, v2, v3
	s_delay_alu instid0(VALU_DEP_4) | instskip(NEXT) | instid1(VALU_DEP_2)
	v_subrev_nc_u32_e32 v2, s0, v0
	v_dual_mov_b32 v3, 0 :: v_dual_add_nc_u32 v0, 3, v3
	.p2align	6
.LBB97_54:                              ; =>This Inner Loop Header: Depth=1
	s_delay_alu instid0(VALU_DEP_1) | instskip(NEXT) | instid1(VALU_DEP_2)
	v_add_nc_u32_e32 v0, 1, v0
	v_lshlrev_b64 v[7:8], 2, v[2:3]
	v_add_nc_u32_e32 v2, 1, v2
	s_delay_alu instid0(VALU_DEP_3) | instskip(SKIP_3) | instid1(VALU_DEP_2)
	v_cmp_eq_u32_e32 vcc_lo, 1, v0
	v_cmp_eq_u32_e64 s0, 2, v0
	v_cndmask_b32_e32 v4, v11, v1, vcc_lo
	v_cmp_lt_u32_e32 vcc_lo, 2, v0
	v_cndmask_b32_e64 v4, v4, v6, s0
	v_add_co_u32 v7, s0, s12, v7
	s_delay_alu instid0(VALU_DEP_1) | instskip(SKIP_2) | instid1(VALU_DEP_1)
	v_add_co_ci_u32_e64 v8, s0, s13, v8, s0
	v_cmp_eq_u32_e64 s0, 3, v0
	s_or_b32 s1, vcc_lo, s1
	v_cndmask_b32_e64 v4, v4, v5, s0
	global_store_b32 v[7:8], v4, off
	s_and_not1_b32 exec_lo, exec_lo, s1
	s_cbranch_execnz .LBB97_54
.LBB97_55:
	s_endpgm
	.section	.rodata,"a",@progbits
	.p2align	6, 0x0
	.amdhsa_kernel Transform_I32_S_000_16_16_VW_4
		.amdhsa_group_segment_fixed_size 0
		.amdhsa_private_segment_fixed_size 64
		.amdhsa_kernarg_size 344
		.amdhsa_user_sgpr_count 14
		.amdhsa_user_sgpr_dispatch_ptr 0
		.amdhsa_user_sgpr_queue_ptr 0
		.amdhsa_user_sgpr_kernarg_segment_ptr 1
		.amdhsa_user_sgpr_dispatch_id 0
		.amdhsa_user_sgpr_private_segment_size 0
		.amdhsa_wavefront_size32 1
		.amdhsa_uses_dynamic_stack 0
		.amdhsa_enable_private_segment 1
		.amdhsa_system_sgpr_workgroup_id_x 1
		.amdhsa_system_sgpr_workgroup_id_y 0
		.amdhsa_system_sgpr_workgroup_id_z 1
		.amdhsa_system_sgpr_workgroup_info 0
		.amdhsa_system_vgpr_workitem_id 0
		.amdhsa_next_free_vgpr 42
		.amdhsa_next_free_sgpr 34
		.amdhsa_reserve_vcc 1
		.amdhsa_float_round_mode_32 0
		.amdhsa_float_round_mode_16_64 0
		.amdhsa_float_denorm_mode_32 3
		.amdhsa_float_denorm_mode_16_64 3
		.amdhsa_dx10_clamp 1
		.amdhsa_ieee_mode 1
		.amdhsa_fp16_overflow 0
		.amdhsa_workgroup_processor_mode 1
		.amdhsa_memory_ordered 1
		.amdhsa_forward_progress 0
		.amdhsa_shared_vgpr_count 0
		.amdhsa_exception_fp_ieee_invalid_op 0
		.amdhsa_exception_fp_denorm_src 0
		.amdhsa_exception_fp_ieee_div_zero 0
		.amdhsa_exception_fp_ieee_overflow 0
		.amdhsa_exception_fp_ieee_underflow 0
		.amdhsa_exception_fp_ieee_inexact 0
		.amdhsa_exception_int_div_zero 0
	.end_amdhsa_kernel
	.text
.Lfunc_end97:
	.size	Transform_I32_S_000_16_16_VW_4, .Lfunc_end97-Transform_I32_S_000_16_16_VW_4
                                        ; -- End function
	.section	.AMDGPU.csdata,"",@progbits
; Kernel info:
; codeLenInByte = 1824
; NumSgprs: 36
; NumVgprs: 42
; ScratchSize: 64
; MemoryBound: 0
; FloatMode: 240
; IeeeMode: 1
; LDSByteSize: 0 bytes/workgroup (compile time only)
; SGPRBlocks: 4
; VGPRBlocks: 5
; NumSGPRsForWavesPerEU: 36
; NumVGPRsForWavesPerEU: 42
; Occupancy: 16
; WaveLimiterHint : 1
; COMPUTE_PGM_RSRC2:SCRATCH_EN: 1
; COMPUTE_PGM_RSRC2:USER_SGPR: 14
; COMPUTE_PGM_RSRC2:TRAP_HANDLER: 0
; COMPUTE_PGM_RSRC2:TGID_X_EN: 1
; COMPUTE_PGM_RSRC2:TGID_Y_EN: 0
; COMPUTE_PGM_RSRC2:TGID_Z_EN: 1
; COMPUTE_PGM_RSRC2:TIDIG_COMP_CNT: 0
	.text
	.p2alignl 7, 3214868480
	.fill 96, 4, 3214868480
	.type	__const.__assert_fail.fmt,@object ; @__const.__assert_fail.fmt
	.section	.rodata.str1.16,"aMS",@progbits,1
	.p2align	4, 0x0
__const.__assert_fail.fmt:
	.asciz	"%s:%u: %s: Device-side assertion `%s' failed.\n"
	.size	__const.__assert_fail.fmt, 47

	.type	.str,@object                    ; @.str
	.section	.rodata.str1.1,"aMS",@progbits,1
.str:
	.asciz	"TileM * TileN == numThreadsPerBlock * VectorWidth"
	.size	.str, 50

	.type	.str.1,@object                  ; @.str.1
.str.1:
	.asciz	"/root/src/amdgpu-assembly/repos/ROCm__hipBLASLt/library/src/amd_detail/rocblaslt/src/kernels/matrix_transform.cpp"
	.size	.str.1, 114

	.type	__PRETTY_FUNCTION__._ZN10amd_detail9transformIffLb1ELb1ELb1ELj16ELj16ELj1EEEvPT_PKS1_S4_T0_PKS5_S5_S7_jjjjjjbb,@object ; @__PRETTY_FUNCTION__._ZN10amd_detail9transformIffLb1ELb1ELb1ELj16ELj16ELj1EEEvPT_PKS1_S4_T0_PKS5_S5_S7_jjjjjjbb
__PRETTY_FUNCTION__._ZN10amd_detail9transformIffLb1ELb1ELb1ELj16ELj16ELj1EEEvPT_PKS1_S4_T0_PKS5_S5_S7_jjjjjjbb:
	.asciz	"void amd_detail::transform(DType *, const DType *, const DType *, ScaleType, const ScaleType *, ScaleType, const ScaleType *, uint32_t, uint32_t, uint32_t, uint32_t, uint32_t, uint32_t, bool, bool) [DType = float, ScaleType = float, RowMajA = true, RowMajB = true, RowMajC = true, NumThreadsM = 16U, NumThreadsN = 16U, VectorWidth = 1U]"
	.size	__PRETTY_FUNCTION__._ZN10amd_detail9transformIffLb1ELb1ELb1ELj16ELj16ELj1EEEvPT_PKS1_S4_T0_PKS5_S5_S7_jjjjjjbb, 337

	.type	__PRETTY_FUNCTION__._ZN10amd_detail9transformIffLb1ELb1ELb1ELj16ELj16ELj4EEEvPT_PKS1_S4_T0_PKS5_S5_S7_jjjjjjbb,@object ; @__PRETTY_FUNCTION__._ZN10amd_detail9transformIffLb1ELb1ELb1ELj16ELj16ELj4EEEvPT_PKS1_S4_T0_PKS5_S5_S7_jjjjjjbb
__PRETTY_FUNCTION__._ZN10amd_detail9transformIffLb1ELb1ELb1ELj16ELj16ELj4EEEvPT_PKS1_S4_T0_PKS5_S5_S7_jjjjjjbb:
	.asciz	"void amd_detail::transform(DType *, const DType *, const DType *, ScaleType, const ScaleType *, ScaleType, const ScaleType *, uint32_t, uint32_t, uint32_t, uint32_t, uint32_t, uint32_t, bool, bool) [DType = float, ScaleType = float, RowMajA = true, RowMajB = true, RowMajC = true, NumThreadsM = 16U, NumThreadsN = 16U, VectorWidth = 4U]"
	.size	__PRETTY_FUNCTION__._ZN10amd_detail9transformIffLb1ELb1ELb1ELj16ELj16ELj4EEEvPT_PKS1_S4_T0_PKS5_S5_S7_jjjjjjbb, 337

	.type	__PRETTY_FUNCTION__._ZN10amd_detail9transformIffLb1ELb1ELb0ELj16ELj16ELj1EEEvPT_PKS1_S4_T0_PKS5_S5_S7_jjjjjjbb,@object ; @__PRETTY_FUNCTION__._ZN10amd_detail9transformIffLb1ELb1ELb0ELj16ELj16ELj1EEEvPT_PKS1_S4_T0_PKS5_S5_S7_jjjjjjbb
__PRETTY_FUNCTION__._ZN10amd_detail9transformIffLb1ELb1ELb0ELj16ELj16ELj1EEEvPT_PKS1_S4_T0_PKS5_S5_S7_jjjjjjbb:
	.asciz	"void amd_detail::transform(DType *, const DType *, const DType *, ScaleType, const ScaleType *, ScaleType, const ScaleType *, uint32_t, uint32_t, uint32_t, uint32_t, uint32_t, uint32_t, bool, bool) [DType = float, ScaleType = float, RowMajA = true, RowMajB = true, RowMajC = false, NumThreadsM = 16U, NumThreadsN = 16U, VectorWidth = 1U]"
	.size	__PRETTY_FUNCTION__._ZN10amd_detail9transformIffLb1ELb1ELb0ELj16ELj16ELj1EEEvPT_PKS1_S4_T0_PKS5_S5_S7_jjjjjjbb, 338

	.type	__PRETTY_FUNCTION__._ZN10amd_detail9transformIffLb1ELb1ELb0ELj16ELj16ELj4EEEvPT_PKS1_S4_T0_PKS5_S5_S7_jjjjjjbb,@object ; @__PRETTY_FUNCTION__._ZN10amd_detail9transformIffLb1ELb1ELb0ELj16ELj16ELj4EEEvPT_PKS1_S4_T0_PKS5_S5_S7_jjjjjjbb
__PRETTY_FUNCTION__._ZN10amd_detail9transformIffLb1ELb1ELb0ELj16ELj16ELj4EEEvPT_PKS1_S4_T0_PKS5_S5_S7_jjjjjjbb:
	.asciz	"void amd_detail::transform(DType *, const DType *, const DType *, ScaleType, const ScaleType *, ScaleType, const ScaleType *, uint32_t, uint32_t, uint32_t, uint32_t, uint32_t, uint32_t, bool, bool) [DType = float, ScaleType = float, RowMajA = true, RowMajB = true, RowMajC = false, NumThreadsM = 16U, NumThreadsN = 16U, VectorWidth = 4U]"
	.size	__PRETTY_FUNCTION__._ZN10amd_detail9transformIffLb1ELb1ELb0ELj16ELj16ELj4EEEvPT_PKS1_S4_T0_PKS5_S5_S7_jjjjjjbb, 338

	.type	__PRETTY_FUNCTION__._ZN10amd_detail9transformIffLb1ELb0ELb1ELj16ELj16ELj1EEEvPT_PKS1_S4_T0_PKS5_S5_S7_jjjjjjbb,@object ; @__PRETTY_FUNCTION__._ZN10amd_detail9transformIffLb1ELb0ELb1ELj16ELj16ELj1EEEvPT_PKS1_S4_T0_PKS5_S5_S7_jjjjjjbb
__PRETTY_FUNCTION__._ZN10amd_detail9transformIffLb1ELb0ELb1ELj16ELj16ELj1EEEvPT_PKS1_S4_T0_PKS5_S5_S7_jjjjjjbb:
	.asciz	"void amd_detail::transform(DType *, const DType *, const DType *, ScaleType, const ScaleType *, ScaleType, const ScaleType *, uint32_t, uint32_t, uint32_t, uint32_t, uint32_t, uint32_t, bool, bool) [DType = float, ScaleType = float, RowMajA = true, RowMajB = false, RowMajC = true, NumThreadsM = 16U, NumThreadsN = 16U, VectorWidth = 1U]"
	.size	__PRETTY_FUNCTION__._ZN10amd_detail9transformIffLb1ELb0ELb1ELj16ELj16ELj1EEEvPT_PKS1_S4_T0_PKS5_S5_S7_jjjjjjbb, 338

	.type	__PRETTY_FUNCTION__._ZN10amd_detail9transformIffLb1ELb0ELb1ELj16ELj16ELj4EEEvPT_PKS1_S4_T0_PKS5_S5_S7_jjjjjjbb,@object ; @__PRETTY_FUNCTION__._ZN10amd_detail9transformIffLb1ELb0ELb1ELj16ELj16ELj4EEEvPT_PKS1_S4_T0_PKS5_S5_S7_jjjjjjbb
__PRETTY_FUNCTION__._ZN10amd_detail9transformIffLb1ELb0ELb1ELj16ELj16ELj4EEEvPT_PKS1_S4_T0_PKS5_S5_S7_jjjjjjbb:
	.asciz	"void amd_detail::transform(DType *, const DType *, const DType *, ScaleType, const ScaleType *, ScaleType, const ScaleType *, uint32_t, uint32_t, uint32_t, uint32_t, uint32_t, uint32_t, bool, bool) [DType = float, ScaleType = float, RowMajA = true, RowMajB = false, RowMajC = true, NumThreadsM = 16U, NumThreadsN = 16U, VectorWidth = 4U]"
	.size	__PRETTY_FUNCTION__._ZN10amd_detail9transformIffLb1ELb0ELb1ELj16ELj16ELj4EEEvPT_PKS1_S4_T0_PKS5_S5_S7_jjjjjjbb, 338

	.type	__PRETTY_FUNCTION__._ZN10amd_detail9transformIffLb1ELb0ELb0ELj16ELj16ELj1EEEvPT_PKS1_S4_T0_PKS5_S5_S7_jjjjjjbb,@object ; @__PRETTY_FUNCTION__._ZN10amd_detail9transformIffLb1ELb0ELb0ELj16ELj16ELj1EEEvPT_PKS1_S4_T0_PKS5_S5_S7_jjjjjjbb
__PRETTY_FUNCTION__._ZN10amd_detail9transformIffLb1ELb0ELb0ELj16ELj16ELj1EEEvPT_PKS1_S4_T0_PKS5_S5_S7_jjjjjjbb:
	.asciz	"void amd_detail::transform(DType *, const DType *, const DType *, ScaleType, const ScaleType *, ScaleType, const ScaleType *, uint32_t, uint32_t, uint32_t, uint32_t, uint32_t, uint32_t, bool, bool) [DType = float, ScaleType = float, RowMajA = true, RowMajB = false, RowMajC = false, NumThreadsM = 16U, NumThreadsN = 16U, VectorWidth = 1U]"
	.size	__PRETTY_FUNCTION__._ZN10amd_detail9transformIffLb1ELb0ELb0ELj16ELj16ELj1EEEvPT_PKS1_S4_T0_PKS5_S5_S7_jjjjjjbb, 339

	.type	__PRETTY_FUNCTION__._ZN10amd_detail9transformIffLb1ELb0ELb0ELj16ELj16ELj4EEEvPT_PKS1_S4_T0_PKS5_S5_S7_jjjjjjbb,@object ; @__PRETTY_FUNCTION__._ZN10amd_detail9transformIffLb1ELb0ELb0ELj16ELj16ELj4EEEvPT_PKS1_S4_T0_PKS5_S5_S7_jjjjjjbb
__PRETTY_FUNCTION__._ZN10amd_detail9transformIffLb1ELb0ELb0ELj16ELj16ELj4EEEvPT_PKS1_S4_T0_PKS5_S5_S7_jjjjjjbb:
	.asciz	"void amd_detail::transform(DType *, const DType *, const DType *, ScaleType, const ScaleType *, ScaleType, const ScaleType *, uint32_t, uint32_t, uint32_t, uint32_t, uint32_t, uint32_t, bool, bool) [DType = float, ScaleType = float, RowMajA = true, RowMajB = false, RowMajC = false, NumThreadsM = 16U, NumThreadsN = 16U, VectorWidth = 4U]"
	.size	__PRETTY_FUNCTION__._ZN10amd_detail9transformIffLb1ELb0ELb0ELj16ELj16ELj4EEEvPT_PKS1_S4_T0_PKS5_S5_S7_jjjjjjbb, 339

	.type	__PRETTY_FUNCTION__._ZN10amd_detail9transformIffLb0ELb1ELb1ELj16ELj16ELj1EEEvPT_PKS1_S4_T0_PKS5_S5_S7_jjjjjjbb,@object ; @__PRETTY_FUNCTION__._ZN10amd_detail9transformIffLb0ELb1ELb1ELj16ELj16ELj1EEEvPT_PKS1_S4_T0_PKS5_S5_S7_jjjjjjbb
__PRETTY_FUNCTION__._ZN10amd_detail9transformIffLb0ELb1ELb1ELj16ELj16ELj1EEEvPT_PKS1_S4_T0_PKS5_S5_S7_jjjjjjbb:
	.asciz	"void amd_detail::transform(DType *, const DType *, const DType *, ScaleType, const ScaleType *, ScaleType, const ScaleType *, uint32_t, uint32_t, uint32_t, uint32_t, uint32_t, uint32_t, bool, bool) [DType = float, ScaleType = float, RowMajA = false, RowMajB = true, RowMajC = true, NumThreadsM = 16U, NumThreadsN = 16U, VectorWidth = 1U]"
	.size	__PRETTY_FUNCTION__._ZN10amd_detail9transformIffLb0ELb1ELb1ELj16ELj16ELj1EEEvPT_PKS1_S4_T0_PKS5_S5_S7_jjjjjjbb, 338

	.type	__PRETTY_FUNCTION__._ZN10amd_detail9transformIffLb0ELb1ELb1ELj16ELj16ELj4EEEvPT_PKS1_S4_T0_PKS5_S5_S7_jjjjjjbb,@object ; @__PRETTY_FUNCTION__._ZN10amd_detail9transformIffLb0ELb1ELb1ELj16ELj16ELj4EEEvPT_PKS1_S4_T0_PKS5_S5_S7_jjjjjjbb
__PRETTY_FUNCTION__._ZN10amd_detail9transformIffLb0ELb1ELb1ELj16ELj16ELj4EEEvPT_PKS1_S4_T0_PKS5_S5_S7_jjjjjjbb:
	.asciz	"void amd_detail::transform(DType *, const DType *, const DType *, ScaleType, const ScaleType *, ScaleType, const ScaleType *, uint32_t, uint32_t, uint32_t, uint32_t, uint32_t, uint32_t, bool, bool) [DType = float, ScaleType = float, RowMajA = false, RowMajB = true, RowMajC = true, NumThreadsM = 16U, NumThreadsN = 16U, VectorWidth = 4U]"
	.size	__PRETTY_FUNCTION__._ZN10amd_detail9transformIffLb0ELb1ELb1ELj16ELj16ELj4EEEvPT_PKS1_S4_T0_PKS5_S5_S7_jjjjjjbb, 338

	.type	__PRETTY_FUNCTION__._ZN10amd_detail9transformIffLb0ELb1ELb0ELj16ELj16ELj1EEEvPT_PKS1_S4_T0_PKS5_S5_S7_jjjjjjbb,@object ; @__PRETTY_FUNCTION__._ZN10amd_detail9transformIffLb0ELb1ELb0ELj16ELj16ELj1EEEvPT_PKS1_S4_T0_PKS5_S5_S7_jjjjjjbb
__PRETTY_FUNCTION__._ZN10amd_detail9transformIffLb0ELb1ELb0ELj16ELj16ELj1EEEvPT_PKS1_S4_T0_PKS5_S5_S7_jjjjjjbb:
	.asciz	"void amd_detail::transform(DType *, const DType *, const DType *, ScaleType, const ScaleType *, ScaleType, const ScaleType *, uint32_t, uint32_t, uint32_t, uint32_t, uint32_t, uint32_t, bool, bool) [DType = float, ScaleType = float, RowMajA = false, RowMajB = true, RowMajC = false, NumThreadsM = 16U, NumThreadsN = 16U, VectorWidth = 1U]"
	.size	__PRETTY_FUNCTION__._ZN10amd_detail9transformIffLb0ELb1ELb0ELj16ELj16ELj1EEEvPT_PKS1_S4_T0_PKS5_S5_S7_jjjjjjbb, 339

	.type	__PRETTY_FUNCTION__._ZN10amd_detail9transformIffLb0ELb1ELb0ELj16ELj16ELj4EEEvPT_PKS1_S4_T0_PKS5_S5_S7_jjjjjjbb,@object ; @__PRETTY_FUNCTION__._ZN10amd_detail9transformIffLb0ELb1ELb0ELj16ELj16ELj4EEEvPT_PKS1_S4_T0_PKS5_S5_S7_jjjjjjbb
__PRETTY_FUNCTION__._ZN10amd_detail9transformIffLb0ELb1ELb0ELj16ELj16ELj4EEEvPT_PKS1_S4_T0_PKS5_S5_S7_jjjjjjbb:
	.asciz	"void amd_detail::transform(DType *, const DType *, const DType *, ScaleType, const ScaleType *, ScaleType, const ScaleType *, uint32_t, uint32_t, uint32_t, uint32_t, uint32_t, uint32_t, bool, bool) [DType = float, ScaleType = float, RowMajA = false, RowMajB = true, RowMajC = false, NumThreadsM = 16U, NumThreadsN = 16U, VectorWidth = 4U]"
	.size	__PRETTY_FUNCTION__._ZN10amd_detail9transformIffLb0ELb1ELb0ELj16ELj16ELj4EEEvPT_PKS1_S4_T0_PKS5_S5_S7_jjjjjjbb, 339

	.type	__PRETTY_FUNCTION__._ZN10amd_detail9transformIffLb0ELb0ELb1ELj16ELj16ELj1EEEvPT_PKS1_S4_T0_PKS5_S5_S7_jjjjjjbb,@object ; @__PRETTY_FUNCTION__._ZN10amd_detail9transformIffLb0ELb0ELb1ELj16ELj16ELj1EEEvPT_PKS1_S4_T0_PKS5_S5_S7_jjjjjjbb
__PRETTY_FUNCTION__._ZN10amd_detail9transformIffLb0ELb0ELb1ELj16ELj16ELj1EEEvPT_PKS1_S4_T0_PKS5_S5_S7_jjjjjjbb:
	.asciz	"void amd_detail::transform(DType *, const DType *, const DType *, ScaleType, const ScaleType *, ScaleType, const ScaleType *, uint32_t, uint32_t, uint32_t, uint32_t, uint32_t, uint32_t, bool, bool) [DType = float, ScaleType = float, RowMajA = false, RowMajB = false, RowMajC = true, NumThreadsM = 16U, NumThreadsN = 16U, VectorWidth = 1U]"
	.size	__PRETTY_FUNCTION__._ZN10amd_detail9transformIffLb0ELb0ELb1ELj16ELj16ELj1EEEvPT_PKS1_S4_T0_PKS5_S5_S7_jjjjjjbb, 339

	.type	__PRETTY_FUNCTION__._ZN10amd_detail9transformIffLb0ELb0ELb1ELj16ELj16ELj4EEEvPT_PKS1_S4_T0_PKS5_S5_S7_jjjjjjbb,@object ; @__PRETTY_FUNCTION__._ZN10amd_detail9transformIffLb0ELb0ELb1ELj16ELj16ELj4EEEvPT_PKS1_S4_T0_PKS5_S5_S7_jjjjjjbb
__PRETTY_FUNCTION__._ZN10amd_detail9transformIffLb0ELb0ELb1ELj16ELj16ELj4EEEvPT_PKS1_S4_T0_PKS5_S5_S7_jjjjjjbb:
	.asciz	"void amd_detail::transform(DType *, const DType *, const DType *, ScaleType, const ScaleType *, ScaleType, const ScaleType *, uint32_t, uint32_t, uint32_t, uint32_t, uint32_t, uint32_t, bool, bool) [DType = float, ScaleType = float, RowMajA = false, RowMajB = false, RowMajC = true, NumThreadsM = 16U, NumThreadsN = 16U, VectorWidth = 4U]"
	.size	__PRETTY_FUNCTION__._ZN10amd_detail9transformIffLb0ELb0ELb1ELj16ELj16ELj4EEEvPT_PKS1_S4_T0_PKS5_S5_S7_jjjjjjbb, 339

	.type	__PRETTY_FUNCTION__._ZN10amd_detail9transformIffLb0ELb0ELb0ELj16ELj16ELj1EEEvPT_PKS1_S4_T0_PKS5_S5_S7_jjjjjjbb,@object ; @__PRETTY_FUNCTION__._ZN10amd_detail9transformIffLb0ELb0ELb0ELj16ELj16ELj1EEEvPT_PKS1_S4_T0_PKS5_S5_S7_jjjjjjbb
__PRETTY_FUNCTION__._ZN10amd_detail9transformIffLb0ELb0ELb0ELj16ELj16ELj1EEEvPT_PKS1_S4_T0_PKS5_S5_S7_jjjjjjbb:
	.asciz	"void amd_detail::transform(DType *, const DType *, const DType *, ScaleType, const ScaleType *, ScaleType, const ScaleType *, uint32_t, uint32_t, uint32_t, uint32_t, uint32_t, uint32_t, bool, bool) [DType = float, ScaleType = float, RowMajA = false, RowMajB = false, RowMajC = false, NumThreadsM = 16U, NumThreadsN = 16U, VectorWidth = 1U]"
	.size	__PRETTY_FUNCTION__._ZN10amd_detail9transformIffLb0ELb0ELb0ELj16ELj16ELj1EEEvPT_PKS1_S4_T0_PKS5_S5_S7_jjjjjjbb, 340

	.type	__PRETTY_FUNCTION__._ZN10amd_detail9transformIffLb0ELb0ELb0ELj16ELj16ELj4EEEvPT_PKS1_S4_T0_PKS5_S5_S7_jjjjjjbb,@object ; @__PRETTY_FUNCTION__._ZN10amd_detail9transformIffLb0ELb0ELb0ELj16ELj16ELj4EEEvPT_PKS1_S4_T0_PKS5_S5_S7_jjjjjjbb
__PRETTY_FUNCTION__._ZN10amd_detail9transformIffLb0ELb0ELb0ELj16ELj16ELj4EEEvPT_PKS1_S4_T0_PKS5_S5_S7_jjjjjjbb:
	.asciz	"void amd_detail::transform(DType *, const DType *, const DType *, ScaleType, const ScaleType *, ScaleType, const ScaleType *, uint32_t, uint32_t, uint32_t, uint32_t, uint32_t, uint32_t, bool, bool) [DType = float, ScaleType = float, RowMajA = false, RowMajB = false, RowMajC = false, NumThreadsM = 16U, NumThreadsN = 16U, VectorWidth = 4U]"
	.size	__PRETTY_FUNCTION__._ZN10amd_detail9transformIffLb0ELb0ELb0ELj16ELj16ELj4EEEvPT_PKS1_S4_T0_PKS5_S5_S7_jjjjjjbb, 340

	.type	__PRETTY_FUNCTION__._ZN10amd_detail9transformIDF16_DF16_Lb1ELb1ELb1ELj16ELj16ELj1EEEvPT_PKS1_S4_T0_PKS5_S5_S7_jjjjjjbb,@object ; @__PRETTY_FUNCTION__._ZN10amd_detail9transformIDF16_DF16_Lb1ELb1ELb1ELj16ELj16ELj1EEEvPT_PKS1_S4_T0_PKS5_S5_S7_jjjjjjbb
__PRETTY_FUNCTION__._ZN10amd_detail9transformIDF16_DF16_Lb1ELb1ELb1ELj16ELj16ELj1EEEvPT_PKS1_S4_T0_PKS5_S5_S7_jjjjjjbb:
	.asciz	"void amd_detail::transform(DType *, const DType *, const DType *, ScaleType, const ScaleType *, ScaleType, const ScaleType *, uint32_t, uint32_t, uint32_t, uint32_t, uint32_t, uint32_t, bool, bool) [DType = _Float16, ScaleType = _Float16, RowMajA = true, RowMajB = true, RowMajC = true, NumThreadsM = 16U, NumThreadsN = 16U, VectorWidth = 1U]"
	.size	__PRETTY_FUNCTION__._ZN10amd_detail9transformIDF16_DF16_Lb1ELb1ELb1ELj16ELj16ELj1EEEvPT_PKS1_S4_T0_PKS5_S5_S7_jjjjjjbb, 343

	.type	__PRETTY_FUNCTION__._ZN10amd_detail9transformIDF16_DF16_Lb1ELb1ELb1ELj16ELj16ELj4EEEvPT_PKS1_S4_T0_PKS5_S5_S7_jjjjjjbb,@object ; @__PRETTY_FUNCTION__._ZN10amd_detail9transformIDF16_DF16_Lb1ELb1ELb1ELj16ELj16ELj4EEEvPT_PKS1_S4_T0_PKS5_S5_S7_jjjjjjbb
__PRETTY_FUNCTION__._ZN10amd_detail9transformIDF16_DF16_Lb1ELb1ELb1ELj16ELj16ELj4EEEvPT_PKS1_S4_T0_PKS5_S5_S7_jjjjjjbb:
	.asciz	"void amd_detail::transform(DType *, const DType *, const DType *, ScaleType, const ScaleType *, ScaleType, const ScaleType *, uint32_t, uint32_t, uint32_t, uint32_t, uint32_t, uint32_t, bool, bool) [DType = _Float16, ScaleType = _Float16, RowMajA = true, RowMajB = true, RowMajC = true, NumThreadsM = 16U, NumThreadsN = 16U, VectorWidth = 4U]"
	.size	__PRETTY_FUNCTION__._ZN10amd_detail9transformIDF16_DF16_Lb1ELb1ELb1ELj16ELj16ELj4EEEvPT_PKS1_S4_T0_PKS5_S5_S7_jjjjjjbb, 343

	.type	__PRETTY_FUNCTION__._ZN10amd_detail9transformIDF16_DF16_Lb1ELb1ELb0ELj16ELj16ELj1EEEvPT_PKS1_S4_T0_PKS5_S5_S7_jjjjjjbb,@object ; @__PRETTY_FUNCTION__._ZN10amd_detail9transformIDF16_DF16_Lb1ELb1ELb0ELj16ELj16ELj1EEEvPT_PKS1_S4_T0_PKS5_S5_S7_jjjjjjbb
__PRETTY_FUNCTION__._ZN10amd_detail9transformIDF16_DF16_Lb1ELb1ELb0ELj16ELj16ELj1EEEvPT_PKS1_S4_T0_PKS5_S5_S7_jjjjjjbb:
	.asciz	"void amd_detail::transform(DType *, const DType *, const DType *, ScaleType, const ScaleType *, ScaleType, const ScaleType *, uint32_t, uint32_t, uint32_t, uint32_t, uint32_t, uint32_t, bool, bool) [DType = _Float16, ScaleType = _Float16, RowMajA = true, RowMajB = true, RowMajC = false, NumThreadsM = 16U, NumThreadsN = 16U, VectorWidth = 1U]"
	.size	__PRETTY_FUNCTION__._ZN10amd_detail9transformIDF16_DF16_Lb1ELb1ELb0ELj16ELj16ELj1EEEvPT_PKS1_S4_T0_PKS5_S5_S7_jjjjjjbb, 344

	.type	__PRETTY_FUNCTION__._ZN10amd_detail9transformIDF16_DF16_Lb1ELb1ELb0ELj16ELj16ELj4EEEvPT_PKS1_S4_T0_PKS5_S5_S7_jjjjjjbb,@object ; @__PRETTY_FUNCTION__._ZN10amd_detail9transformIDF16_DF16_Lb1ELb1ELb0ELj16ELj16ELj4EEEvPT_PKS1_S4_T0_PKS5_S5_S7_jjjjjjbb
__PRETTY_FUNCTION__._ZN10amd_detail9transformIDF16_DF16_Lb1ELb1ELb0ELj16ELj16ELj4EEEvPT_PKS1_S4_T0_PKS5_S5_S7_jjjjjjbb:
	.asciz	"void amd_detail::transform(DType *, const DType *, const DType *, ScaleType, const ScaleType *, ScaleType, const ScaleType *, uint32_t, uint32_t, uint32_t, uint32_t, uint32_t, uint32_t, bool, bool) [DType = _Float16, ScaleType = _Float16, RowMajA = true, RowMajB = true, RowMajC = false, NumThreadsM = 16U, NumThreadsN = 16U, VectorWidth = 4U]"
	.size	__PRETTY_FUNCTION__._ZN10amd_detail9transformIDF16_DF16_Lb1ELb1ELb0ELj16ELj16ELj4EEEvPT_PKS1_S4_T0_PKS5_S5_S7_jjjjjjbb, 344

	.type	__PRETTY_FUNCTION__._ZN10amd_detail9transformIDF16_DF16_Lb1ELb0ELb1ELj16ELj16ELj1EEEvPT_PKS1_S4_T0_PKS5_S5_S7_jjjjjjbb,@object ; @__PRETTY_FUNCTION__._ZN10amd_detail9transformIDF16_DF16_Lb1ELb0ELb1ELj16ELj16ELj1EEEvPT_PKS1_S4_T0_PKS5_S5_S7_jjjjjjbb
__PRETTY_FUNCTION__._ZN10amd_detail9transformIDF16_DF16_Lb1ELb0ELb1ELj16ELj16ELj1EEEvPT_PKS1_S4_T0_PKS5_S5_S7_jjjjjjbb:
	.asciz	"void amd_detail::transform(DType *, const DType *, const DType *, ScaleType, const ScaleType *, ScaleType, const ScaleType *, uint32_t, uint32_t, uint32_t, uint32_t, uint32_t, uint32_t, bool, bool) [DType = _Float16, ScaleType = _Float16, RowMajA = true, RowMajB = false, RowMajC = true, NumThreadsM = 16U, NumThreadsN = 16U, VectorWidth = 1U]"
	.size	__PRETTY_FUNCTION__._ZN10amd_detail9transformIDF16_DF16_Lb1ELb0ELb1ELj16ELj16ELj1EEEvPT_PKS1_S4_T0_PKS5_S5_S7_jjjjjjbb, 344

	.type	__PRETTY_FUNCTION__._ZN10amd_detail9transformIDF16_DF16_Lb1ELb0ELb1ELj16ELj16ELj4EEEvPT_PKS1_S4_T0_PKS5_S5_S7_jjjjjjbb,@object ; @__PRETTY_FUNCTION__._ZN10amd_detail9transformIDF16_DF16_Lb1ELb0ELb1ELj16ELj16ELj4EEEvPT_PKS1_S4_T0_PKS5_S5_S7_jjjjjjbb
__PRETTY_FUNCTION__._ZN10amd_detail9transformIDF16_DF16_Lb1ELb0ELb1ELj16ELj16ELj4EEEvPT_PKS1_S4_T0_PKS5_S5_S7_jjjjjjbb:
	.asciz	"void amd_detail::transform(DType *, const DType *, const DType *, ScaleType, const ScaleType *, ScaleType, const ScaleType *, uint32_t, uint32_t, uint32_t, uint32_t, uint32_t, uint32_t, bool, bool) [DType = _Float16, ScaleType = _Float16, RowMajA = true, RowMajB = false, RowMajC = true, NumThreadsM = 16U, NumThreadsN = 16U, VectorWidth = 4U]"
	.size	__PRETTY_FUNCTION__._ZN10amd_detail9transformIDF16_DF16_Lb1ELb0ELb1ELj16ELj16ELj4EEEvPT_PKS1_S4_T0_PKS5_S5_S7_jjjjjjbb, 344

	.type	__PRETTY_FUNCTION__._ZN10amd_detail9transformIDF16_DF16_Lb1ELb0ELb0ELj16ELj16ELj1EEEvPT_PKS1_S4_T0_PKS5_S5_S7_jjjjjjbb,@object ; @__PRETTY_FUNCTION__._ZN10amd_detail9transformIDF16_DF16_Lb1ELb0ELb0ELj16ELj16ELj1EEEvPT_PKS1_S4_T0_PKS5_S5_S7_jjjjjjbb
__PRETTY_FUNCTION__._ZN10amd_detail9transformIDF16_DF16_Lb1ELb0ELb0ELj16ELj16ELj1EEEvPT_PKS1_S4_T0_PKS5_S5_S7_jjjjjjbb:
	.asciz	"void amd_detail::transform(DType *, const DType *, const DType *, ScaleType, const ScaleType *, ScaleType, const ScaleType *, uint32_t, uint32_t, uint32_t, uint32_t, uint32_t, uint32_t, bool, bool) [DType = _Float16, ScaleType = _Float16, RowMajA = true, RowMajB = false, RowMajC = false, NumThreadsM = 16U, NumThreadsN = 16U, VectorWidth = 1U]"
	.size	__PRETTY_FUNCTION__._ZN10amd_detail9transformIDF16_DF16_Lb1ELb0ELb0ELj16ELj16ELj1EEEvPT_PKS1_S4_T0_PKS5_S5_S7_jjjjjjbb, 345

	.type	__PRETTY_FUNCTION__._ZN10amd_detail9transformIDF16_DF16_Lb1ELb0ELb0ELj16ELj16ELj4EEEvPT_PKS1_S4_T0_PKS5_S5_S7_jjjjjjbb,@object ; @__PRETTY_FUNCTION__._ZN10amd_detail9transformIDF16_DF16_Lb1ELb0ELb0ELj16ELj16ELj4EEEvPT_PKS1_S4_T0_PKS5_S5_S7_jjjjjjbb
__PRETTY_FUNCTION__._ZN10amd_detail9transformIDF16_DF16_Lb1ELb0ELb0ELj16ELj16ELj4EEEvPT_PKS1_S4_T0_PKS5_S5_S7_jjjjjjbb:
	.asciz	"void amd_detail::transform(DType *, const DType *, const DType *, ScaleType, const ScaleType *, ScaleType, const ScaleType *, uint32_t, uint32_t, uint32_t, uint32_t, uint32_t, uint32_t, bool, bool) [DType = _Float16, ScaleType = _Float16, RowMajA = true, RowMajB = false, RowMajC = false, NumThreadsM = 16U, NumThreadsN = 16U, VectorWidth = 4U]"
	.size	__PRETTY_FUNCTION__._ZN10amd_detail9transformIDF16_DF16_Lb1ELb0ELb0ELj16ELj16ELj4EEEvPT_PKS1_S4_T0_PKS5_S5_S7_jjjjjjbb, 345

	.type	__PRETTY_FUNCTION__._ZN10amd_detail9transformIDF16_DF16_Lb0ELb1ELb1ELj16ELj16ELj1EEEvPT_PKS1_S4_T0_PKS5_S5_S7_jjjjjjbb,@object ; @__PRETTY_FUNCTION__._ZN10amd_detail9transformIDF16_DF16_Lb0ELb1ELb1ELj16ELj16ELj1EEEvPT_PKS1_S4_T0_PKS5_S5_S7_jjjjjjbb
__PRETTY_FUNCTION__._ZN10amd_detail9transformIDF16_DF16_Lb0ELb1ELb1ELj16ELj16ELj1EEEvPT_PKS1_S4_T0_PKS5_S5_S7_jjjjjjbb:
	.asciz	"void amd_detail::transform(DType *, const DType *, const DType *, ScaleType, const ScaleType *, ScaleType, const ScaleType *, uint32_t, uint32_t, uint32_t, uint32_t, uint32_t, uint32_t, bool, bool) [DType = _Float16, ScaleType = _Float16, RowMajA = false, RowMajB = true, RowMajC = true, NumThreadsM = 16U, NumThreadsN = 16U, VectorWidth = 1U]"
	.size	__PRETTY_FUNCTION__._ZN10amd_detail9transformIDF16_DF16_Lb0ELb1ELb1ELj16ELj16ELj1EEEvPT_PKS1_S4_T0_PKS5_S5_S7_jjjjjjbb, 344

	.type	__PRETTY_FUNCTION__._ZN10amd_detail9transformIDF16_DF16_Lb0ELb1ELb1ELj16ELj16ELj4EEEvPT_PKS1_S4_T0_PKS5_S5_S7_jjjjjjbb,@object ; @__PRETTY_FUNCTION__._ZN10amd_detail9transformIDF16_DF16_Lb0ELb1ELb1ELj16ELj16ELj4EEEvPT_PKS1_S4_T0_PKS5_S5_S7_jjjjjjbb
__PRETTY_FUNCTION__._ZN10amd_detail9transformIDF16_DF16_Lb0ELb1ELb1ELj16ELj16ELj4EEEvPT_PKS1_S4_T0_PKS5_S5_S7_jjjjjjbb:
	.asciz	"void amd_detail::transform(DType *, const DType *, const DType *, ScaleType, const ScaleType *, ScaleType, const ScaleType *, uint32_t, uint32_t, uint32_t, uint32_t, uint32_t, uint32_t, bool, bool) [DType = _Float16, ScaleType = _Float16, RowMajA = false, RowMajB = true, RowMajC = true, NumThreadsM = 16U, NumThreadsN = 16U, VectorWidth = 4U]"
	.size	__PRETTY_FUNCTION__._ZN10amd_detail9transformIDF16_DF16_Lb0ELb1ELb1ELj16ELj16ELj4EEEvPT_PKS1_S4_T0_PKS5_S5_S7_jjjjjjbb, 344

	.type	__PRETTY_FUNCTION__._ZN10amd_detail9transformIDF16_DF16_Lb0ELb1ELb0ELj16ELj16ELj1EEEvPT_PKS1_S4_T0_PKS5_S5_S7_jjjjjjbb,@object ; @__PRETTY_FUNCTION__._ZN10amd_detail9transformIDF16_DF16_Lb0ELb1ELb0ELj16ELj16ELj1EEEvPT_PKS1_S4_T0_PKS5_S5_S7_jjjjjjbb
__PRETTY_FUNCTION__._ZN10amd_detail9transformIDF16_DF16_Lb0ELb1ELb0ELj16ELj16ELj1EEEvPT_PKS1_S4_T0_PKS5_S5_S7_jjjjjjbb:
	.asciz	"void amd_detail::transform(DType *, const DType *, const DType *, ScaleType, const ScaleType *, ScaleType, const ScaleType *, uint32_t, uint32_t, uint32_t, uint32_t, uint32_t, uint32_t, bool, bool) [DType = _Float16, ScaleType = _Float16, RowMajA = false, RowMajB = true, RowMajC = false, NumThreadsM = 16U, NumThreadsN = 16U, VectorWidth = 1U]"
	.size	__PRETTY_FUNCTION__._ZN10amd_detail9transformIDF16_DF16_Lb0ELb1ELb0ELj16ELj16ELj1EEEvPT_PKS1_S4_T0_PKS5_S5_S7_jjjjjjbb, 345

	.type	__PRETTY_FUNCTION__._ZN10amd_detail9transformIDF16_DF16_Lb0ELb1ELb0ELj16ELj16ELj4EEEvPT_PKS1_S4_T0_PKS5_S5_S7_jjjjjjbb,@object ; @__PRETTY_FUNCTION__._ZN10amd_detail9transformIDF16_DF16_Lb0ELb1ELb0ELj16ELj16ELj4EEEvPT_PKS1_S4_T0_PKS5_S5_S7_jjjjjjbb
__PRETTY_FUNCTION__._ZN10amd_detail9transformIDF16_DF16_Lb0ELb1ELb0ELj16ELj16ELj4EEEvPT_PKS1_S4_T0_PKS5_S5_S7_jjjjjjbb:
	.asciz	"void amd_detail::transform(DType *, const DType *, const DType *, ScaleType, const ScaleType *, ScaleType, const ScaleType *, uint32_t, uint32_t, uint32_t, uint32_t, uint32_t, uint32_t, bool, bool) [DType = _Float16, ScaleType = _Float16, RowMajA = false, RowMajB = true, RowMajC = false, NumThreadsM = 16U, NumThreadsN = 16U, VectorWidth = 4U]"
	.size	__PRETTY_FUNCTION__._ZN10amd_detail9transformIDF16_DF16_Lb0ELb1ELb0ELj16ELj16ELj4EEEvPT_PKS1_S4_T0_PKS5_S5_S7_jjjjjjbb, 345

	.type	__PRETTY_FUNCTION__._ZN10amd_detail9transformIDF16_DF16_Lb0ELb0ELb1ELj16ELj16ELj1EEEvPT_PKS1_S4_T0_PKS5_S5_S7_jjjjjjbb,@object ; @__PRETTY_FUNCTION__._ZN10amd_detail9transformIDF16_DF16_Lb0ELb0ELb1ELj16ELj16ELj1EEEvPT_PKS1_S4_T0_PKS5_S5_S7_jjjjjjbb
__PRETTY_FUNCTION__._ZN10amd_detail9transformIDF16_DF16_Lb0ELb0ELb1ELj16ELj16ELj1EEEvPT_PKS1_S4_T0_PKS5_S5_S7_jjjjjjbb:
	.asciz	"void amd_detail::transform(DType *, const DType *, const DType *, ScaleType, const ScaleType *, ScaleType, const ScaleType *, uint32_t, uint32_t, uint32_t, uint32_t, uint32_t, uint32_t, bool, bool) [DType = _Float16, ScaleType = _Float16, RowMajA = false, RowMajB = false, RowMajC = true, NumThreadsM = 16U, NumThreadsN = 16U, VectorWidth = 1U]"
	.size	__PRETTY_FUNCTION__._ZN10amd_detail9transformIDF16_DF16_Lb0ELb0ELb1ELj16ELj16ELj1EEEvPT_PKS1_S4_T0_PKS5_S5_S7_jjjjjjbb, 345

	.type	__PRETTY_FUNCTION__._ZN10amd_detail9transformIDF16_DF16_Lb0ELb0ELb1ELj16ELj16ELj4EEEvPT_PKS1_S4_T0_PKS5_S5_S7_jjjjjjbb,@object ; @__PRETTY_FUNCTION__._ZN10amd_detail9transformIDF16_DF16_Lb0ELb0ELb1ELj16ELj16ELj4EEEvPT_PKS1_S4_T0_PKS5_S5_S7_jjjjjjbb
__PRETTY_FUNCTION__._ZN10amd_detail9transformIDF16_DF16_Lb0ELb0ELb1ELj16ELj16ELj4EEEvPT_PKS1_S4_T0_PKS5_S5_S7_jjjjjjbb:
	.asciz	"void amd_detail::transform(DType *, const DType *, const DType *, ScaleType, const ScaleType *, ScaleType, const ScaleType *, uint32_t, uint32_t, uint32_t, uint32_t, uint32_t, uint32_t, bool, bool) [DType = _Float16, ScaleType = _Float16, RowMajA = false, RowMajB = false, RowMajC = true, NumThreadsM = 16U, NumThreadsN = 16U, VectorWidth = 4U]"
	.size	__PRETTY_FUNCTION__._ZN10amd_detail9transformIDF16_DF16_Lb0ELb0ELb1ELj16ELj16ELj4EEEvPT_PKS1_S4_T0_PKS5_S5_S7_jjjjjjbb, 345

	.type	__PRETTY_FUNCTION__._ZN10amd_detail9transformIDF16_DF16_Lb0ELb0ELb0ELj16ELj16ELj1EEEvPT_PKS1_S4_T0_PKS5_S5_S7_jjjjjjbb,@object ; @__PRETTY_FUNCTION__._ZN10amd_detail9transformIDF16_DF16_Lb0ELb0ELb0ELj16ELj16ELj1EEEvPT_PKS1_S4_T0_PKS5_S5_S7_jjjjjjbb
__PRETTY_FUNCTION__._ZN10amd_detail9transformIDF16_DF16_Lb0ELb0ELb0ELj16ELj16ELj1EEEvPT_PKS1_S4_T0_PKS5_S5_S7_jjjjjjbb:
	.asciz	"void amd_detail::transform(DType *, const DType *, const DType *, ScaleType, const ScaleType *, ScaleType, const ScaleType *, uint32_t, uint32_t, uint32_t, uint32_t, uint32_t, uint32_t, bool, bool) [DType = _Float16, ScaleType = _Float16, RowMajA = false, RowMajB = false, RowMajC = false, NumThreadsM = 16U, NumThreadsN = 16U, VectorWidth = 1U]"
	.size	__PRETTY_FUNCTION__._ZN10amd_detail9transformIDF16_DF16_Lb0ELb0ELb0ELj16ELj16ELj1EEEvPT_PKS1_S4_T0_PKS5_S5_S7_jjjjjjbb, 346

	.type	__PRETTY_FUNCTION__._ZN10amd_detail9transformIDF16_DF16_Lb0ELb0ELb0ELj16ELj16ELj4EEEvPT_PKS1_S4_T0_PKS5_S5_S7_jjjjjjbb,@object ; @__PRETTY_FUNCTION__._ZN10amd_detail9transformIDF16_DF16_Lb0ELb0ELb0ELj16ELj16ELj4EEEvPT_PKS1_S4_T0_PKS5_S5_S7_jjjjjjbb
__PRETTY_FUNCTION__._ZN10amd_detail9transformIDF16_DF16_Lb0ELb0ELb0ELj16ELj16ELj4EEEvPT_PKS1_S4_T0_PKS5_S5_S7_jjjjjjbb:
	.asciz	"void amd_detail::transform(DType *, const DType *, const DType *, ScaleType, const ScaleType *, ScaleType, const ScaleType *, uint32_t, uint32_t, uint32_t, uint32_t, uint32_t, uint32_t, bool, bool) [DType = _Float16, ScaleType = _Float16, RowMajA = false, RowMajB = false, RowMajC = false, NumThreadsM = 16U, NumThreadsN = 16U, VectorWidth = 4U]"
	.size	__PRETTY_FUNCTION__._ZN10amd_detail9transformIDF16_DF16_Lb0ELb0ELb0ELj16ELj16ELj4EEEvPT_PKS1_S4_T0_PKS5_S5_S7_jjjjjjbb, 346

	.type	__PRETTY_FUNCTION__._ZN10amd_detail9transformIDF16_fLb1ELb1ELb1ELj16ELj16ELj1EEEvPT_PKS1_S4_T0_PKS5_S5_S7_jjjjjjbb,@object ; @__PRETTY_FUNCTION__._ZN10amd_detail9transformIDF16_fLb1ELb1ELb1ELj16ELj16ELj1EEEvPT_PKS1_S4_T0_PKS5_S5_S7_jjjjjjbb
__PRETTY_FUNCTION__._ZN10amd_detail9transformIDF16_fLb1ELb1ELb1ELj16ELj16ELj1EEEvPT_PKS1_S4_T0_PKS5_S5_S7_jjjjjjbb:
	.asciz	"void amd_detail::transform(DType *, const DType *, const DType *, ScaleType, const ScaleType *, ScaleType, const ScaleType *, uint32_t, uint32_t, uint32_t, uint32_t, uint32_t, uint32_t, bool, bool) [DType = _Float16, ScaleType = float, RowMajA = true, RowMajB = true, RowMajC = true, NumThreadsM = 16U, NumThreadsN = 16U, VectorWidth = 1U]"
	.size	__PRETTY_FUNCTION__._ZN10amd_detail9transformIDF16_fLb1ELb1ELb1ELj16ELj16ELj1EEEvPT_PKS1_S4_T0_PKS5_S5_S7_jjjjjjbb, 340

	.type	__PRETTY_FUNCTION__._ZN10amd_detail9transformIDF16_fLb1ELb1ELb1ELj16ELj16ELj4EEEvPT_PKS1_S4_T0_PKS5_S5_S7_jjjjjjbb,@object ; @__PRETTY_FUNCTION__._ZN10amd_detail9transformIDF16_fLb1ELb1ELb1ELj16ELj16ELj4EEEvPT_PKS1_S4_T0_PKS5_S5_S7_jjjjjjbb
__PRETTY_FUNCTION__._ZN10amd_detail9transformIDF16_fLb1ELb1ELb1ELj16ELj16ELj4EEEvPT_PKS1_S4_T0_PKS5_S5_S7_jjjjjjbb:
	.asciz	"void amd_detail::transform(DType *, const DType *, const DType *, ScaleType, const ScaleType *, ScaleType, const ScaleType *, uint32_t, uint32_t, uint32_t, uint32_t, uint32_t, uint32_t, bool, bool) [DType = _Float16, ScaleType = float, RowMajA = true, RowMajB = true, RowMajC = true, NumThreadsM = 16U, NumThreadsN = 16U, VectorWidth = 4U]"
	.size	__PRETTY_FUNCTION__._ZN10amd_detail9transformIDF16_fLb1ELb1ELb1ELj16ELj16ELj4EEEvPT_PKS1_S4_T0_PKS5_S5_S7_jjjjjjbb, 340

	.type	__PRETTY_FUNCTION__._ZN10amd_detail9transformIDF16_fLb1ELb1ELb0ELj16ELj16ELj1EEEvPT_PKS1_S4_T0_PKS5_S5_S7_jjjjjjbb,@object ; @__PRETTY_FUNCTION__._ZN10amd_detail9transformIDF16_fLb1ELb1ELb0ELj16ELj16ELj1EEEvPT_PKS1_S4_T0_PKS5_S5_S7_jjjjjjbb
__PRETTY_FUNCTION__._ZN10amd_detail9transformIDF16_fLb1ELb1ELb0ELj16ELj16ELj1EEEvPT_PKS1_S4_T0_PKS5_S5_S7_jjjjjjbb:
	.asciz	"void amd_detail::transform(DType *, const DType *, const DType *, ScaleType, const ScaleType *, ScaleType, const ScaleType *, uint32_t, uint32_t, uint32_t, uint32_t, uint32_t, uint32_t, bool, bool) [DType = _Float16, ScaleType = float, RowMajA = true, RowMajB = true, RowMajC = false, NumThreadsM = 16U, NumThreadsN = 16U, VectorWidth = 1U]"
	.size	__PRETTY_FUNCTION__._ZN10amd_detail9transformIDF16_fLb1ELb1ELb0ELj16ELj16ELj1EEEvPT_PKS1_S4_T0_PKS5_S5_S7_jjjjjjbb, 341

	.type	__PRETTY_FUNCTION__._ZN10amd_detail9transformIDF16_fLb1ELb1ELb0ELj16ELj16ELj4EEEvPT_PKS1_S4_T0_PKS5_S5_S7_jjjjjjbb,@object ; @__PRETTY_FUNCTION__._ZN10amd_detail9transformIDF16_fLb1ELb1ELb0ELj16ELj16ELj4EEEvPT_PKS1_S4_T0_PKS5_S5_S7_jjjjjjbb
__PRETTY_FUNCTION__._ZN10amd_detail9transformIDF16_fLb1ELb1ELb0ELj16ELj16ELj4EEEvPT_PKS1_S4_T0_PKS5_S5_S7_jjjjjjbb:
	.asciz	"void amd_detail::transform(DType *, const DType *, const DType *, ScaleType, const ScaleType *, ScaleType, const ScaleType *, uint32_t, uint32_t, uint32_t, uint32_t, uint32_t, uint32_t, bool, bool) [DType = _Float16, ScaleType = float, RowMajA = true, RowMajB = true, RowMajC = false, NumThreadsM = 16U, NumThreadsN = 16U, VectorWidth = 4U]"
	.size	__PRETTY_FUNCTION__._ZN10amd_detail9transformIDF16_fLb1ELb1ELb0ELj16ELj16ELj4EEEvPT_PKS1_S4_T0_PKS5_S5_S7_jjjjjjbb, 341

	.type	__PRETTY_FUNCTION__._ZN10amd_detail9transformIDF16_fLb1ELb0ELb1ELj16ELj16ELj1EEEvPT_PKS1_S4_T0_PKS5_S5_S7_jjjjjjbb,@object ; @__PRETTY_FUNCTION__._ZN10amd_detail9transformIDF16_fLb1ELb0ELb1ELj16ELj16ELj1EEEvPT_PKS1_S4_T0_PKS5_S5_S7_jjjjjjbb
__PRETTY_FUNCTION__._ZN10amd_detail9transformIDF16_fLb1ELb0ELb1ELj16ELj16ELj1EEEvPT_PKS1_S4_T0_PKS5_S5_S7_jjjjjjbb:
	.asciz	"void amd_detail::transform(DType *, const DType *, const DType *, ScaleType, const ScaleType *, ScaleType, const ScaleType *, uint32_t, uint32_t, uint32_t, uint32_t, uint32_t, uint32_t, bool, bool) [DType = _Float16, ScaleType = float, RowMajA = true, RowMajB = false, RowMajC = true, NumThreadsM = 16U, NumThreadsN = 16U, VectorWidth = 1U]"
	.size	__PRETTY_FUNCTION__._ZN10amd_detail9transformIDF16_fLb1ELb0ELb1ELj16ELj16ELj1EEEvPT_PKS1_S4_T0_PKS5_S5_S7_jjjjjjbb, 341

	.type	__PRETTY_FUNCTION__._ZN10amd_detail9transformIDF16_fLb1ELb0ELb1ELj16ELj16ELj4EEEvPT_PKS1_S4_T0_PKS5_S5_S7_jjjjjjbb,@object ; @__PRETTY_FUNCTION__._ZN10amd_detail9transformIDF16_fLb1ELb0ELb1ELj16ELj16ELj4EEEvPT_PKS1_S4_T0_PKS5_S5_S7_jjjjjjbb
__PRETTY_FUNCTION__._ZN10amd_detail9transformIDF16_fLb1ELb0ELb1ELj16ELj16ELj4EEEvPT_PKS1_S4_T0_PKS5_S5_S7_jjjjjjbb:
	.asciz	"void amd_detail::transform(DType *, const DType *, const DType *, ScaleType, const ScaleType *, ScaleType, const ScaleType *, uint32_t, uint32_t, uint32_t, uint32_t, uint32_t, uint32_t, bool, bool) [DType = _Float16, ScaleType = float, RowMajA = true, RowMajB = false, RowMajC = true, NumThreadsM = 16U, NumThreadsN = 16U, VectorWidth = 4U]"
	.size	__PRETTY_FUNCTION__._ZN10amd_detail9transformIDF16_fLb1ELb0ELb1ELj16ELj16ELj4EEEvPT_PKS1_S4_T0_PKS5_S5_S7_jjjjjjbb, 341

	.type	__PRETTY_FUNCTION__._ZN10amd_detail9transformIDF16_fLb1ELb0ELb0ELj16ELj16ELj1EEEvPT_PKS1_S4_T0_PKS5_S5_S7_jjjjjjbb,@object ; @__PRETTY_FUNCTION__._ZN10amd_detail9transformIDF16_fLb1ELb0ELb0ELj16ELj16ELj1EEEvPT_PKS1_S4_T0_PKS5_S5_S7_jjjjjjbb
__PRETTY_FUNCTION__._ZN10amd_detail9transformIDF16_fLb1ELb0ELb0ELj16ELj16ELj1EEEvPT_PKS1_S4_T0_PKS5_S5_S7_jjjjjjbb:
	.asciz	"void amd_detail::transform(DType *, const DType *, const DType *, ScaleType, const ScaleType *, ScaleType, const ScaleType *, uint32_t, uint32_t, uint32_t, uint32_t, uint32_t, uint32_t, bool, bool) [DType = _Float16, ScaleType = float, RowMajA = true, RowMajB = false, RowMajC = false, NumThreadsM = 16U, NumThreadsN = 16U, VectorWidth = 1U]"
	.size	__PRETTY_FUNCTION__._ZN10amd_detail9transformIDF16_fLb1ELb0ELb0ELj16ELj16ELj1EEEvPT_PKS1_S4_T0_PKS5_S5_S7_jjjjjjbb, 342

	.type	__PRETTY_FUNCTION__._ZN10amd_detail9transformIDF16_fLb1ELb0ELb0ELj16ELj16ELj4EEEvPT_PKS1_S4_T0_PKS5_S5_S7_jjjjjjbb,@object ; @__PRETTY_FUNCTION__._ZN10amd_detail9transformIDF16_fLb1ELb0ELb0ELj16ELj16ELj4EEEvPT_PKS1_S4_T0_PKS5_S5_S7_jjjjjjbb
__PRETTY_FUNCTION__._ZN10amd_detail9transformIDF16_fLb1ELb0ELb0ELj16ELj16ELj4EEEvPT_PKS1_S4_T0_PKS5_S5_S7_jjjjjjbb:
	.asciz	"void amd_detail::transform(DType *, const DType *, const DType *, ScaleType, const ScaleType *, ScaleType, const ScaleType *, uint32_t, uint32_t, uint32_t, uint32_t, uint32_t, uint32_t, bool, bool) [DType = _Float16, ScaleType = float, RowMajA = true, RowMajB = false, RowMajC = false, NumThreadsM = 16U, NumThreadsN = 16U, VectorWidth = 4U]"
	.size	__PRETTY_FUNCTION__._ZN10amd_detail9transformIDF16_fLb1ELb0ELb0ELj16ELj16ELj4EEEvPT_PKS1_S4_T0_PKS5_S5_S7_jjjjjjbb, 342

	.type	__PRETTY_FUNCTION__._ZN10amd_detail9transformIDF16_fLb0ELb1ELb1ELj16ELj16ELj1EEEvPT_PKS1_S4_T0_PKS5_S5_S7_jjjjjjbb,@object ; @__PRETTY_FUNCTION__._ZN10amd_detail9transformIDF16_fLb0ELb1ELb1ELj16ELj16ELj1EEEvPT_PKS1_S4_T0_PKS5_S5_S7_jjjjjjbb
__PRETTY_FUNCTION__._ZN10amd_detail9transformIDF16_fLb0ELb1ELb1ELj16ELj16ELj1EEEvPT_PKS1_S4_T0_PKS5_S5_S7_jjjjjjbb:
	.asciz	"void amd_detail::transform(DType *, const DType *, const DType *, ScaleType, const ScaleType *, ScaleType, const ScaleType *, uint32_t, uint32_t, uint32_t, uint32_t, uint32_t, uint32_t, bool, bool) [DType = _Float16, ScaleType = float, RowMajA = false, RowMajB = true, RowMajC = true, NumThreadsM = 16U, NumThreadsN = 16U, VectorWidth = 1U]"
	.size	__PRETTY_FUNCTION__._ZN10amd_detail9transformIDF16_fLb0ELb1ELb1ELj16ELj16ELj1EEEvPT_PKS1_S4_T0_PKS5_S5_S7_jjjjjjbb, 341

	.type	__PRETTY_FUNCTION__._ZN10amd_detail9transformIDF16_fLb0ELb1ELb1ELj16ELj16ELj4EEEvPT_PKS1_S4_T0_PKS5_S5_S7_jjjjjjbb,@object ; @__PRETTY_FUNCTION__._ZN10amd_detail9transformIDF16_fLb0ELb1ELb1ELj16ELj16ELj4EEEvPT_PKS1_S4_T0_PKS5_S5_S7_jjjjjjbb
__PRETTY_FUNCTION__._ZN10amd_detail9transformIDF16_fLb0ELb1ELb1ELj16ELj16ELj4EEEvPT_PKS1_S4_T0_PKS5_S5_S7_jjjjjjbb:
	.asciz	"void amd_detail::transform(DType *, const DType *, const DType *, ScaleType, const ScaleType *, ScaleType, const ScaleType *, uint32_t, uint32_t, uint32_t, uint32_t, uint32_t, uint32_t, bool, bool) [DType = _Float16, ScaleType = float, RowMajA = false, RowMajB = true, RowMajC = true, NumThreadsM = 16U, NumThreadsN = 16U, VectorWidth = 4U]"
	.size	__PRETTY_FUNCTION__._ZN10amd_detail9transformIDF16_fLb0ELb1ELb1ELj16ELj16ELj4EEEvPT_PKS1_S4_T0_PKS5_S5_S7_jjjjjjbb, 341

	.type	__PRETTY_FUNCTION__._ZN10amd_detail9transformIDF16_fLb0ELb1ELb0ELj16ELj16ELj1EEEvPT_PKS1_S4_T0_PKS5_S5_S7_jjjjjjbb,@object ; @__PRETTY_FUNCTION__._ZN10amd_detail9transformIDF16_fLb0ELb1ELb0ELj16ELj16ELj1EEEvPT_PKS1_S4_T0_PKS5_S5_S7_jjjjjjbb
__PRETTY_FUNCTION__._ZN10amd_detail9transformIDF16_fLb0ELb1ELb0ELj16ELj16ELj1EEEvPT_PKS1_S4_T0_PKS5_S5_S7_jjjjjjbb:
	.asciz	"void amd_detail::transform(DType *, const DType *, const DType *, ScaleType, const ScaleType *, ScaleType, const ScaleType *, uint32_t, uint32_t, uint32_t, uint32_t, uint32_t, uint32_t, bool, bool) [DType = _Float16, ScaleType = float, RowMajA = false, RowMajB = true, RowMajC = false, NumThreadsM = 16U, NumThreadsN = 16U, VectorWidth = 1U]"
	.size	__PRETTY_FUNCTION__._ZN10amd_detail9transformIDF16_fLb0ELb1ELb0ELj16ELj16ELj1EEEvPT_PKS1_S4_T0_PKS5_S5_S7_jjjjjjbb, 342

	.type	__PRETTY_FUNCTION__._ZN10amd_detail9transformIDF16_fLb0ELb1ELb0ELj16ELj16ELj4EEEvPT_PKS1_S4_T0_PKS5_S5_S7_jjjjjjbb,@object ; @__PRETTY_FUNCTION__._ZN10amd_detail9transformIDF16_fLb0ELb1ELb0ELj16ELj16ELj4EEEvPT_PKS1_S4_T0_PKS5_S5_S7_jjjjjjbb
__PRETTY_FUNCTION__._ZN10amd_detail9transformIDF16_fLb0ELb1ELb0ELj16ELj16ELj4EEEvPT_PKS1_S4_T0_PKS5_S5_S7_jjjjjjbb:
	.asciz	"void amd_detail::transform(DType *, const DType *, const DType *, ScaleType, const ScaleType *, ScaleType, const ScaleType *, uint32_t, uint32_t, uint32_t, uint32_t, uint32_t, uint32_t, bool, bool) [DType = _Float16, ScaleType = float, RowMajA = false, RowMajB = true, RowMajC = false, NumThreadsM = 16U, NumThreadsN = 16U, VectorWidth = 4U]"
	.size	__PRETTY_FUNCTION__._ZN10amd_detail9transformIDF16_fLb0ELb1ELb0ELj16ELj16ELj4EEEvPT_PKS1_S4_T0_PKS5_S5_S7_jjjjjjbb, 342

	.type	__PRETTY_FUNCTION__._ZN10amd_detail9transformIDF16_fLb0ELb0ELb1ELj16ELj16ELj1EEEvPT_PKS1_S4_T0_PKS5_S5_S7_jjjjjjbb,@object ; @__PRETTY_FUNCTION__._ZN10amd_detail9transformIDF16_fLb0ELb0ELb1ELj16ELj16ELj1EEEvPT_PKS1_S4_T0_PKS5_S5_S7_jjjjjjbb
__PRETTY_FUNCTION__._ZN10amd_detail9transformIDF16_fLb0ELb0ELb1ELj16ELj16ELj1EEEvPT_PKS1_S4_T0_PKS5_S5_S7_jjjjjjbb:
	.asciz	"void amd_detail::transform(DType *, const DType *, const DType *, ScaleType, const ScaleType *, ScaleType, const ScaleType *, uint32_t, uint32_t, uint32_t, uint32_t, uint32_t, uint32_t, bool, bool) [DType = _Float16, ScaleType = float, RowMajA = false, RowMajB = false, RowMajC = true, NumThreadsM = 16U, NumThreadsN = 16U, VectorWidth = 1U]"
	.size	__PRETTY_FUNCTION__._ZN10amd_detail9transformIDF16_fLb0ELb0ELb1ELj16ELj16ELj1EEEvPT_PKS1_S4_T0_PKS5_S5_S7_jjjjjjbb, 342

	.type	__PRETTY_FUNCTION__._ZN10amd_detail9transformIDF16_fLb0ELb0ELb1ELj16ELj16ELj4EEEvPT_PKS1_S4_T0_PKS5_S5_S7_jjjjjjbb,@object ; @__PRETTY_FUNCTION__._ZN10amd_detail9transformIDF16_fLb0ELb0ELb1ELj16ELj16ELj4EEEvPT_PKS1_S4_T0_PKS5_S5_S7_jjjjjjbb
__PRETTY_FUNCTION__._ZN10amd_detail9transformIDF16_fLb0ELb0ELb1ELj16ELj16ELj4EEEvPT_PKS1_S4_T0_PKS5_S5_S7_jjjjjjbb:
	.asciz	"void amd_detail::transform(DType *, const DType *, const DType *, ScaleType, const ScaleType *, ScaleType, const ScaleType *, uint32_t, uint32_t, uint32_t, uint32_t, uint32_t, uint32_t, bool, bool) [DType = _Float16, ScaleType = float, RowMajA = false, RowMajB = false, RowMajC = true, NumThreadsM = 16U, NumThreadsN = 16U, VectorWidth = 4U]"
	.size	__PRETTY_FUNCTION__._ZN10amd_detail9transformIDF16_fLb0ELb0ELb1ELj16ELj16ELj4EEEvPT_PKS1_S4_T0_PKS5_S5_S7_jjjjjjbb, 342

	.type	__PRETTY_FUNCTION__._ZN10amd_detail9transformIDF16_fLb0ELb0ELb0ELj16ELj16ELj1EEEvPT_PKS1_S4_T0_PKS5_S5_S7_jjjjjjbb,@object ; @__PRETTY_FUNCTION__._ZN10amd_detail9transformIDF16_fLb0ELb0ELb0ELj16ELj16ELj1EEEvPT_PKS1_S4_T0_PKS5_S5_S7_jjjjjjbb
__PRETTY_FUNCTION__._ZN10amd_detail9transformIDF16_fLb0ELb0ELb0ELj16ELj16ELj1EEEvPT_PKS1_S4_T0_PKS5_S5_S7_jjjjjjbb:
	.asciz	"void amd_detail::transform(DType *, const DType *, const DType *, ScaleType, const ScaleType *, ScaleType, const ScaleType *, uint32_t, uint32_t, uint32_t, uint32_t, uint32_t, uint32_t, bool, bool) [DType = _Float16, ScaleType = float, RowMajA = false, RowMajB = false, RowMajC = false, NumThreadsM = 16U, NumThreadsN = 16U, VectorWidth = 1U]"
	.size	__PRETTY_FUNCTION__._ZN10amd_detail9transformIDF16_fLb0ELb0ELb0ELj16ELj16ELj1EEEvPT_PKS1_S4_T0_PKS5_S5_S7_jjjjjjbb, 343

	.type	__PRETTY_FUNCTION__._ZN10amd_detail9transformIDF16_fLb0ELb0ELb0ELj16ELj16ELj4EEEvPT_PKS1_S4_T0_PKS5_S5_S7_jjjjjjbb,@object ; @__PRETTY_FUNCTION__._ZN10amd_detail9transformIDF16_fLb0ELb0ELb0ELj16ELj16ELj4EEEvPT_PKS1_S4_T0_PKS5_S5_S7_jjjjjjbb
__PRETTY_FUNCTION__._ZN10amd_detail9transformIDF16_fLb0ELb0ELb0ELj16ELj16ELj4EEEvPT_PKS1_S4_T0_PKS5_S5_S7_jjjjjjbb:
	.asciz	"void amd_detail::transform(DType *, const DType *, const DType *, ScaleType, const ScaleType *, ScaleType, const ScaleType *, uint32_t, uint32_t, uint32_t, uint32_t, uint32_t, uint32_t, bool, bool) [DType = _Float16, ScaleType = float, RowMajA = false, RowMajB = false, RowMajC = false, NumThreadsM = 16U, NumThreadsN = 16U, VectorWidth = 4U]"
	.size	__PRETTY_FUNCTION__._ZN10amd_detail9transformIDF16_fLb0ELb0ELb0ELj16ELj16ELj4EEEvPT_PKS1_S4_T0_PKS5_S5_S7_jjjjjjbb, 343

	.type	__PRETTY_FUNCTION__._ZN10amd_detail9transformI12hip_bfloat16fLb1ELb1ELb1ELj16ELj16ELj1EEEvPT_PKS2_S5_T0_PKS6_S6_S8_jjjjjjbb,@object ; @__PRETTY_FUNCTION__._ZN10amd_detail9transformI12hip_bfloat16fLb1ELb1ELb1ELj16ELj16ELj1EEEvPT_PKS2_S5_T0_PKS6_S6_S8_jjjjjjbb
__PRETTY_FUNCTION__._ZN10amd_detail9transformI12hip_bfloat16fLb1ELb1ELb1ELj16ELj16ELj1EEEvPT_PKS2_S5_T0_PKS6_S6_S8_jjjjjjbb:
	.asciz	"void amd_detail::transform(DType *, const DType *, const DType *, ScaleType, const ScaleType *, ScaleType, const ScaleType *, uint32_t, uint32_t, uint32_t, uint32_t, uint32_t, uint32_t, bool, bool) [DType = hip_bfloat16, ScaleType = float, RowMajA = true, RowMajB = true, RowMajC = true, NumThreadsM = 16U, NumThreadsN = 16U, VectorWidth = 1U]"
	.size	__PRETTY_FUNCTION__._ZN10amd_detail9transformI12hip_bfloat16fLb1ELb1ELb1ELj16ELj16ELj1EEEvPT_PKS2_S5_T0_PKS6_S6_S8_jjjjjjbb, 344

	.type	__PRETTY_FUNCTION__._ZN10amd_detail9transformI12hip_bfloat16fLb1ELb1ELb1ELj16ELj16ELj4EEEvPT_PKS2_S5_T0_PKS6_S6_S8_jjjjjjbb,@object ; @__PRETTY_FUNCTION__._ZN10amd_detail9transformI12hip_bfloat16fLb1ELb1ELb1ELj16ELj16ELj4EEEvPT_PKS2_S5_T0_PKS6_S6_S8_jjjjjjbb
__PRETTY_FUNCTION__._ZN10amd_detail9transformI12hip_bfloat16fLb1ELb1ELb1ELj16ELj16ELj4EEEvPT_PKS2_S5_T0_PKS6_S6_S8_jjjjjjbb:
	.asciz	"void amd_detail::transform(DType *, const DType *, const DType *, ScaleType, const ScaleType *, ScaleType, const ScaleType *, uint32_t, uint32_t, uint32_t, uint32_t, uint32_t, uint32_t, bool, bool) [DType = hip_bfloat16, ScaleType = float, RowMajA = true, RowMajB = true, RowMajC = true, NumThreadsM = 16U, NumThreadsN = 16U, VectorWidth = 4U]"
	.size	__PRETTY_FUNCTION__._ZN10amd_detail9transformI12hip_bfloat16fLb1ELb1ELb1ELj16ELj16ELj4EEEvPT_PKS2_S5_T0_PKS6_S6_S8_jjjjjjbb, 344

	.type	__PRETTY_FUNCTION__._ZN10amd_detail9transformI12hip_bfloat16fLb1ELb1ELb0ELj16ELj16ELj1EEEvPT_PKS2_S5_T0_PKS6_S6_S8_jjjjjjbb,@object ; @__PRETTY_FUNCTION__._ZN10amd_detail9transformI12hip_bfloat16fLb1ELb1ELb0ELj16ELj16ELj1EEEvPT_PKS2_S5_T0_PKS6_S6_S8_jjjjjjbb
__PRETTY_FUNCTION__._ZN10amd_detail9transformI12hip_bfloat16fLb1ELb1ELb0ELj16ELj16ELj1EEEvPT_PKS2_S5_T0_PKS6_S6_S8_jjjjjjbb:
	.asciz	"void amd_detail::transform(DType *, const DType *, const DType *, ScaleType, const ScaleType *, ScaleType, const ScaleType *, uint32_t, uint32_t, uint32_t, uint32_t, uint32_t, uint32_t, bool, bool) [DType = hip_bfloat16, ScaleType = float, RowMajA = true, RowMajB = true, RowMajC = false, NumThreadsM = 16U, NumThreadsN = 16U, VectorWidth = 1U]"
	.size	__PRETTY_FUNCTION__._ZN10amd_detail9transformI12hip_bfloat16fLb1ELb1ELb0ELj16ELj16ELj1EEEvPT_PKS2_S5_T0_PKS6_S6_S8_jjjjjjbb, 345

	.type	__PRETTY_FUNCTION__._ZN10amd_detail9transformI12hip_bfloat16fLb1ELb1ELb0ELj16ELj16ELj4EEEvPT_PKS2_S5_T0_PKS6_S6_S8_jjjjjjbb,@object ; @__PRETTY_FUNCTION__._ZN10amd_detail9transformI12hip_bfloat16fLb1ELb1ELb0ELj16ELj16ELj4EEEvPT_PKS2_S5_T0_PKS6_S6_S8_jjjjjjbb
__PRETTY_FUNCTION__._ZN10amd_detail9transformI12hip_bfloat16fLb1ELb1ELb0ELj16ELj16ELj4EEEvPT_PKS2_S5_T0_PKS6_S6_S8_jjjjjjbb:
	.asciz	"void amd_detail::transform(DType *, const DType *, const DType *, ScaleType, const ScaleType *, ScaleType, const ScaleType *, uint32_t, uint32_t, uint32_t, uint32_t, uint32_t, uint32_t, bool, bool) [DType = hip_bfloat16, ScaleType = float, RowMajA = true, RowMajB = true, RowMajC = false, NumThreadsM = 16U, NumThreadsN = 16U, VectorWidth = 4U]"
	.size	__PRETTY_FUNCTION__._ZN10amd_detail9transformI12hip_bfloat16fLb1ELb1ELb0ELj16ELj16ELj4EEEvPT_PKS2_S5_T0_PKS6_S6_S8_jjjjjjbb, 345

	.type	__PRETTY_FUNCTION__._ZN10amd_detail9transformI12hip_bfloat16fLb1ELb0ELb1ELj16ELj16ELj1EEEvPT_PKS2_S5_T0_PKS6_S6_S8_jjjjjjbb,@object ; @__PRETTY_FUNCTION__._ZN10amd_detail9transformI12hip_bfloat16fLb1ELb0ELb1ELj16ELj16ELj1EEEvPT_PKS2_S5_T0_PKS6_S6_S8_jjjjjjbb
__PRETTY_FUNCTION__._ZN10amd_detail9transformI12hip_bfloat16fLb1ELb0ELb1ELj16ELj16ELj1EEEvPT_PKS2_S5_T0_PKS6_S6_S8_jjjjjjbb:
	.asciz	"void amd_detail::transform(DType *, const DType *, const DType *, ScaleType, const ScaleType *, ScaleType, const ScaleType *, uint32_t, uint32_t, uint32_t, uint32_t, uint32_t, uint32_t, bool, bool) [DType = hip_bfloat16, ScaleType = float, RowMajA = true, RowMajB = false, RowMajC = true, NumThreadsM = 16U, NumThreadsN = 16U, VectorWidth = 1U]"
	.size	__PRETTY_FUNCTION__._ZN10amd_detail9transformI12hip_bfloat16fLb1ELb0ELb1ELj16ELj16ELj1EEEvPT_PKS2_S5_T0_PKS6_S6_S8_jjjjjjbb, 345

	.type	__PRETTY_FUNCTION__._ZN10amd_detail9transformI12hip_bfloat16fLb1ELb0ELb1ELj16ELj16ELj4EEEvPT_PKS2_S5_T0_PKS6_S6_S8_jjjjjjbb,@object ; @__PRETTY_FUNCTION__._ZN10amd_detail9transformI12hip_bfloat16fLb1ELb0ELb1ELj16ELj16ELj4EEEvPT_PKS2_S5_T0_PKS6_S6_S8_jjjjjjbb
__PRETTY_FUNCTION__._ZN10amd_detail9transformI12hip_bfloat16fLb1ELb0ELb1ELj16ELj16ELj4EEEvPT_PKS2_S5_T0_PKS6_S6_S8_jjjjjjbb:
	.asciz	"void amd_detail::transform(DType *, const DType *, const DType *, ScaleType, const ScaleType *, ScaleType, const ScaleType *, uint32_t, uint32_t, uint32_t, uint32_t, uint32_t, uint32_t, bool, bool) [DType = hip_bfloat16, ScaleType = float, RowMajA = true, RowMajB = false, RowMajC = true, NumThreadsM = 16U, NumThreadsN = 16U, VectorWidth = 4U]"
	.size	__PRETTY_FUNCTION__._ZN10amd_detail9transformI12hip_bfloat16fLb1ELb0ELb1ELj16ELj16ELj4EEEvPT_PKS2_S5_T0_PKS6_S6_S8_jjjjjjbb, 345

	.type	__PRETTY_FUNCTION__._ZN10amd_detail9transformI12hip_bfloat16fLb1ELb0ELb0ELj16ELj16ELj1EEEvPT_PKS2_S5_T0_PKS6_S6_S8_jjjjjjbb,@object ; @__PRETTY_FUNCTION__._ZN10amd_detail9transformI12hip_bfloat16fLb1ELb0ELb0ELj16ELj16ELj1EEEvPT_PKS2_S5_T0_PKS6_S6_S8_jjjjjjbb
__PRETTY_FUNCTION__._ZN10amd_detail9transformI12hip_bfloat16fLb1ELb0ELb0ELj16ELj16ELj1EEEvPT_PKS2_S5_T0_PKS6_S6_S8_jjjjjjbb:
	.asciz	"void amd_detail::transform(DType *, const DType *, const DType *, ScaleType, const ScaleType *, ScaleType, const ScaleType *, uint32_t, uint32_t, uint32_t, uint32_t, uint32_t, uint32_t, bool, bool) [DType = hip_bfloat16, ScaleType = float, RowMajA = true, RowMajB = false, RowMajC = false, NumThreadsM = 16U, NumThreadsN = 16U, VectorWidth = 1U]"
	.size	__PRETTY_FUNCTION__._ZN10amd_detail9transformI12hip_bfloat16fLb1ELb0ELb0ELj16ELj16ELj1EEEvPT_PKS2_S5_T0_PKS6_S6_S8_jjjjjjbb, 346

	.type	__PRETTY_FUNCTION__._ZN10amd_detail9transformI12hip_bfloat16fLb1ELb0ELb0ELj16ELj16ELj4EEEvPT_PKS2_S5_T0_PKS6_S6_S8_jjjjjjbb,@object ; @__PRETTY_FUNCTION__._ZN10amd_detail9transformI12hip_bfloat16fLb1ELb0ELb0ELj16ELj16ELj4EEEvPT_PKS2_S5_T0_PKS6_S6_S8_jjjjjjbb
__PRETTY_FUNCTION__._ZN10amd_detail9transformI12hip_bfloat16fLb1ELb0ELb0ELj16ELj16ELj4EEEvPT_PKS2_S5_T0_PKS6_S6_S8_jjjjjjbb:
	.asciz	"void amd_detail::transform(DType *, const DType *, const DType *, ScaleType, const ScaleType *, ScaleType, const ScaleType *, uint32_t, uint32_t, uint32_t, uint32_t, uint32_t, uint32_t, bool, bool) [DType = hip_bfloat16, ScaleType = float, RowMajA = true, RowMajB = false, RowMajC = false, NumThreadsM = 16U, NumThreadsN = 16U, VectorWidth = 4U]"
	.size	__PRETTY_FUNCTION__._ZN10amd_detail9transformI12hip_bfloat16fLb1ELb0ELb0ELj16ELj16ELj4EEEvPT_PKS2_S5_T0_PKS6_S6_S8_jjjjjjbb, 346

	.type	__PRETTY_FUNCTION__._ZN10amd_detail9transformI12hip_bfloat16fLb0ELb1ELb1ELj16ELj16ELj1EEEvPT_PKS2_S5_T0_PKS6_S6_S8_jjjjjjbb,@object ; @__PRETTY_FUNCTION__._ZN10amd_detail9transformI12hip_bfloat16fLb0ELb1ELb1ELj16ELj16ELj1EEEvPT_PKS2_S5_T0_PKS6_S6_S8_jjjjjjbb
__PRETTY_FUNCTION__._ZN10amd_detail9transformI12hip_bfloat16fLb0ELb1ELb1ELj16ELj16ELj1EEEvPT_PKS2_S5_T0_PKS6_S6_S8_jjjjjjbb:
	.asciz	"void amd_detail::transform(DType *, const DType *, const DType *, ScaleType, const ScaleType *, ScaleType, const ScaleType *, uint32_t, uint32_t, uint32_t, uint32_t, uint32_t, uint32_t, bool, bool) [DType = hip_bfloat16, ScaleType = float, RowMajA = false, RowMajB = true, RowMajC = true, NumThreadsM = 16U, NumThreadsN = 16U, VectorWidth = 1U]"
	.size	__PRETTY_FUNCTION__._ZN10amd_detail9transformI12hip_bfloat16fLb0ELb1ELb1ELj16ELj16ELj1EEEvPT_PKS2_S5_T0_PKS6_S6_S8_jjjjjjbb, 345

	.type	__PRETTY_FUNCTION__._ZN10amd_detail9transformI12hip_bfloat16fLb0ELb1ELb1ELj16ELj16ELj4EEEvPT_PKS2_S5_T0_PKS6_S6_S8_jjjjjjbb,@object ; @__PRETTY_FUNCTION__._ZN10amd_detail9transformI12hip_bfloat16fLb0ELb1ELb1ELj16ELj16ELj4EEEvPT_PKS2_S5_T0_PKS6_S6_S8_jjjjjjbb
__PRETTY_FUNCTION__._ZN10amd_detail9transformI12hip_bfloat16fLb0ELb1ELb1ELj16ELj16ELj4EEEvPT_PKS2_S5_T0_PKS6_S6_S8_jjjjjjbb:
	.asciz	"void amd_detail::transform(DType *, const DType *, const DType *, ScaleType, const ScaleType *, ScaleType, const ScaleType *, uint32_t, uint32_t, uint32_t, uint32_t, uint32_t, uint32_t, bool, bool) [DType = hip_bfloat16, ScaleType = float, RowMajA = false, RowMajB = true, RowMajC = true, NumThreadsM = 16U, NumThreadsN = 16U, VectorWidth = 4U]"
	.size	__PRETTY_FUNCTION__._ZN10amd_detail9transformI12hip_bfloat16fLb0ELb1ELb1ELj16ELj16ELj4EEEvPT_PKS2_S5_T0_PKS6_S6_S8_jjjjjjbb, 345

	.type	__PRETTY_FUNCTION__._ZN10amd_detail9transformI12hip_bfloat16fLb0ELb1ELb0ELj16ELj16ELj1EEEvPT_PKS2_S5_T0_PKS6_S6_S8_jjjjjjbb,@object ; @__PRETTY_FUNCTION__._ZN10amd_detail9transformI12hip_bfloat16fLb0ELb1ELb0ELj16ELj16ELj1EEEvPT_PKS2_S5_T0_PKS6_S6_S8_jjjjjjbb
__PRETTY_FUNCTION__._ZN10amd_detail9transformI12hip_bfloat16fLb0ELb1ELb0ELj16ELj16ELj1EEEvPT_PKS2_S5_T0_PKS6_S6_S8_jjjjjjbb:
	.asciz	"void amd_detail::transform(DType *, const DType *, const DType *, ScaleType, const ScaleType *, ScaleType, const ScaleType *, uint32_t, uint32_t, uint32_t, uint32_t, uint32_t, uint32_t, bool, bool) [DType = hip_bfloat16, ScaleType = float, RowMajA = false, RowMajB = true, RowMajC = false, NumThreadsM = 16U, NumThreadsN = 16U, VectorWidth = 1U]"
	.size	__PRETTY_FUNCTION__._ZN10amd_detail9transformI12hip_bfloat16fLb0ELb1ELb0ELj16ELj16ELj1EEEvPT_PKS2_S5_T0_PKS6_S6_S8_jjjjjjbb, 346

	.type	__PRETTY_FUNCTION__._ZN10amd_detail9transformI12hip_bfloat16fLb0ELb1ELb0ELj16ELj16ELj4EEEvPT_PKS2_S5_T0_PKS6_S6_S8_jjjjjjbb,@object ; @__PRETTY_FUNCTION__._ZN10amd_detail9transformI12hip_bfloat16fLb0ELb1ELb0ELj16ELj16ELj4EEEvPT_PKS2_S5_T0_PKS6_S6_S8_jjjjjjbb
__PRETTY_FUNCTION__._ZN10amd_detail9transformI12hip_bfloat16fLb0ELb1ELb0ELj16ELj16ELj4EEEvPT_PKS2_S5_T0_PKS6_S6_S8_jjjjjjbb:
	.asciz	"void amd_detail::transform(DType *, const DType *, const DType *, ScaleType, const ScaleType *, ScaleType, const ScaleType *, uint32_t, uint32_t, uint32_t, uint32_t, uint32_t, uint32_t, bool, bool) [DType = hip_bfloat16, ScaleType = float, RowMajA = false, RowMajB = true, RowMajC = false, NumThreadsM = 16U, NumThreadsN = 16U, VectorWidth = 4U]"
	.size	__PRETTY_FUNCTION__._ZN10amd_detail9transformI12hip_bfloat16fLb0ELb1ELb0ELj16ELj16ELj4EEEvPT_PKS2_S5_T0_PKS6_S6_S8_jjjjjjbb, 346

	.type	__PRETTY_FUNCTION__._ZN10amd_detail9transformI12hip_bfloat16fLb0ELb0ELb1ELj16ELj16ELj1EEEvPT_PKS2_S5_T0_PKS6_S6_S8_jjjjjjbb,@object ; @__PRETTY_FUNCTION__._ZN10amd_detail9transformI12hip_bfloat16fLb0ELb0ELb1ELj16ELj16ELj1EEEvPT_PKS2_S5_T0_PKS6_S6_S8_jjjjjjbb
__PRETTY_FUNCTION__._ZN10amd_detail9transformI12hip_bfloat16fLb0ELb0ELb1ELj16ELj16ELj1EEEvPT_PKS2_S5_T0_PKS6_S6_S8_jjjjjjbb:
	.asciz	"void amd_detail::transform(DType *, const DType *, const DType *, ScaleType, const ScaleType *, ScaleType, const ScaleType *, uint32_t, uint32_t, uint32_t, uint32_t, uint32_t, uint32_t, bool, bool) [DType = hip_bfloat16, ScaleType = float, RowMajA = false, RowMajB = false, RowMajC = true, NumThreadsM = 16U, NumThreadsN = 16U, VectorWidth = 1U]"
	.size	__PRETTY_FUNCTION__._ZN10amd_detail9transformI12hip_bfloat16fLb0ELb0ELb1ELj16ELj16ELj1EEEvPT_PKS2_S5_T0_PKS6_S6_S8_jjjjjjbb, 346

	.type	__PRETTY_FUNCTION__._ZN10amd_detail9transformI12hip_bfloat16fLb0ELb0ELb1ELj16ELj16ELj4EEEvPT_PKS2_S5_T0_PKS6_S6_S8_jjjjjjbb,@object ; @__PRETTY_FUNCTION__._ZN10amd_detail9transformI12hip_bfloat16fLb0ELb0ELb1ELj16ELj16ELj4EEEvPT_PKS2_S5_T0_PKS6_S6_S8_jjjjjjbb
__PRETTY_FUNCTION__._ZN10amd_detail9transformI12hip_bfloat16fLb0ELb0ELb1ELj16ELj16ELj4EEEvPT_PKS2_S5_T0_PKS6_S6_S8_jjjjjjbb:
	.asciz	"void amd_detail::transform(DType *, const DType *, const DType *, ScaleType, const ScaleType *, ScaleType, const ScaleType *, uint32_t, uint32_t, uint32_t, uint32_t, uint32_t, uint32_t, bool, bool) [DType = hip_bfloat16, ScaleType = float, RowMajA = false, RowMajB = false, RowMajC = true, NumThreadsM = 16U, NumThreadsN = 16U, VectorWidth = 4U]"
	.size	__PRETTY_FUNCTION__._ZN10amd_detail9transformI12hip_bfloat16fLb0ELb0ELb1ELj16ELj16ELj4EEEvPT_PKS2_S5_T0_PKS6_S6_S8_jjjjjjbb, 346

	.type	__PRETTY_FUNCTION__._ZN10amd_detail9transformI12hip_bfloat16fLb0ELb0ELb0ELj16ELj16ELj1EEEvPT_PKS2_S5_T0_PKS6_S6_S8_jjjjjjbb,@object ; @__PRETTY_FUNCTION__._ZN10amd_detail9transformI12hip_bfloat16fLb0ELb0ELb0ELj16ELj16ELj1EEEvPT_PKS2_S5_T0_PKS6_S6_S8_jjjjjjbb
__PRETTY_FUNCTION__._ZN10amd_detail9transformI12hip_bfloat16fLb0ELb0ELb0ELj16ELj16ELj1EEEvPT_PKS2_S5_T0_PKS6_S6_S8_jjjjjjbb:
	.asciz	"void amd_detail::transform(DType *, const DType *, const DType *, ScaleType, const ScaleType *, ScaleType, const ScaleType *, uint32_t, uint32_t, uint32_t, uint32_t, uint32_t, uint32_t, bool, bool) [DType = hip_bfloat16, ScaleType = float, RowMajA = false, RowMajB = false, RowMajC = false, NumThreadsM = 16U, NumThreadsN = 16U, VectorWidth = 1U]"
	.size	__PRETTY_FUNCTION__._ZN10amd_detail9transformI12hip_bfloat16fLb0ELb0ELb0ELj16ELj16ELj1EEEvPT_PKS2_S5_T0_PKS6_S6_S8_jjjjjjbb, 347

	.type	__PRETTY_FUNCTION__._ZN10amd_detail9transformI12hip_bfloat16fLb0ELb0ELb0ELj16ELj16ELj4EEEvPT_PKS2_S5_T0_PKS6_S6_S8_jjjjjjbb,@object ; @__PRETTY_FUNCTION__._ZN10amd_detail9transformI12hip_bfloat16fLb0ELb0ELb0ELj16ELj16ELj4EEEvPT_PKS2_S5_T0_PKS6_S6_S8_jjjjjjbb
__PRETTY_FUNCTION__._ZN10amd_detail9transformI12hip_bfloat16fLb0ELb0ELb0ELj16ELj16ELj4EEEvPT_PKS2_S5_T0_PKS6_S6_S8_jjjjjjbb:
	.asciz	"void amd_detail::transform(DType *, const DType *, const DType *, ScaleType, const ScaleType *, ScaleType, const ScaleType *, uint32_t, uint32_t, uint32_t, uint32_t, uint32_t, uint32_t, bool, bool) [DType = hip_bfloat16, ScaleType = float, RowMajA = false, RowMajB = false, RowMajC = false, NumThreadsM = 16U, NumThreadsN = 16U, VectorWidth = 4U]"
	.size	__PRETTY_FUNCTION__._ZN10amd_detail9transformI12hip_bfloat16fLb0ELb0ELb0ELj16ELj16ELj4EEEvPT_PKS2_S5_T0_PKS6_S6_S8_jjjjjjbb, 347

	.type	__PRETTY_FUNCTION__._ZN10amd_detail9transformIafLb1ELb1ELb1ELj16ELj16ELj1EEEvPT_PKS1_S4_T0_PKS5_S5_S7_jjjjjjbb,@object ; @__PRETTY_FUNCTION__._ZN10amd_detail9transformIafLb1ELb1ELb1ELj16ELj16ELj1EEEvPT_PKS1_S4_T0_PKS5_S5_S7_jjjjjjbb
__PRETTY_FUNCTION__._ZN10amd_detail9transformIafLb1ELb1ELb1ELj16ELj16ELj1EEEvPT_PKS1_S4_T0_PKS5_S5_S7_jjjjjjbb:
	.asciz	"void amd_detail::transform(DType *, const DType *, const DType *, ScaleType, const ScaleType *, ScaleType, const ScaleType *, uint32_t, uint32_t, uint32_t, uint32_t, uint32_t, uint32_t, bool, bool) [DType = signed char, ScaleType = float, RowMajA = true, RowMajB = true, RowMajC = true, NumThreadsM = 16U, NumThreadsN = 16U, VectorWidth = 1U]"
	.size	__PRETTY_FUNCTION__._ZN10amd_detail9transformIafLb1ELb1ELb1ELj16ELj16ELj1EEEvPT_PKS1_S4_T0_PKS5_S5_S7_jjjjjjbb, 343

	.type	__PRETTY_FUNCTION__._ZN10amd_detail9transformIafLb1ELb1ELb1ELj16ELj16ELj4EEEvPT_PKS1_S4_T0_PKS5_S5_S7_jjjjjjbb,@object ; @__PRETTY_FUNCTION__._ZN10amd_detail9transformIafLb1ELb1ELb1ELj16ELj16ELj4EEEvPT_PKS1_S4_T0_PKS5_S5_S7_jjjjjjbb
__PRETTY_FUNCTION__._ZN10amd_detail9transformIafLb1ELb1ELb1ELj16ELj16ELj4EEEvPT_PKS1_S4_T0_PKS5_S5_S7_jjjjjjbb:
	.asciz	"void amd_detail::transform(DType *, const DType *, const DType *, ScaleType, const ScaleType *, ScaleType, const ScaleType *, uint32_t, uint32_t, uint32_t, uint32_t, uint32_t, uint32_t, bool, bool) [DType = signed char, ScaleType = float, RowMajA = true, RowMajB = true, RowMajC = true, NumThreadsM = 16U, NumThreadsN = 16U, VectorWidth = 4U]"
	.size	__PRETTY_FUNCTION__._ZN10amd_detail9transformIafLb1ELb1ELb1ELj16ELj16ELj4EEEvPT_PKS1_S4_T0_PKS5_S5_S7_jjjjjjbb, 343

	.type	__PRETTY_FUNCTION__._ZN10amd_detail9transformIafLb1ELb1ELb0ELj16ELj16ELj1EEEvPT_PKS1_S4_T0_PKS5_S5_S7_jjjjjjbb,@object ; @__PRETTY_FUNCTION__._ZN10amd_detail9transformIafLb1ELb1ELb0ELj16ELj16ELj1EEEvPT_PKS1_S4_T0_PKS5_S5_S7_jjjjjjbb
__PRETTY_FUNCTION__._ZN10amd_detail9transformIafLb1ELb1ELb0ELj16ELj16ELj1EEEvPT_PKS1_S4_T0_PKS5_S5_S7_jjjjjjbb:
	.asciz	"void amd_detail::transform(DType *, const DType *, const DType *, ScaleType, const ScaleType *, ScaleType, const ScaleType *, uint32_t, uint32_t, uint32_t, uint32_t, uint32_t, uint32_t, bool, bool) [DType = signed char, ScaleType = float, RowMajA = true, RowMajB = true, RowMajC = false, NumThreadsM = 16U, NumThreadsN = 16U, VectorWidth = 1U]"
	.size	__PRETTY_FUNCTION__._ZN10amd_detail9transformIafLb1ELb1ELb0ELj16ELj16ELj1EEEvPT_PKS1_S4_T0_PKS5_S5_S7_jjjjjjbb, 344

	.type	__PRETTY_FUNCTION__._ZN10amd_detail9transformIafLb1ELb1ELb0ELj16ELj16ELj4EEEvPT_PKS1_S4_T0_PKS5_S5_S7_jjjjjjbb,@object ; @__PRETTY_FUNCTION__._ZN10amd_detail9transformIafLb1ELb1ELb0ELj16ELj16ELj4EEEvPT_PKS1_S4_T0_PKS5_S5_S7_jjjjjjbb
__PRETTY_FUNCTION__._ZN10amd_detail9transformIafLb1ELb1ELb0ELj16ELj16ELj4EEEvPT_PKS1_S4_T0_PKS5_S5_S7_jjjjjjbb:
	.asciz	"void amd_detail::transform(DType *, const DType *, const DType *, ScaleType, const ScaleType *, ScaleType, const ScaleType *, uint32_t, uint32_t, uint32_t, uint32_t, uint32_t, uint32_t, bool, bool) [DType = signed char, ScaleType = float, RowMajA = true, RowMajB = true, RowMajC = false, NumThreadsM = 16U, NumThreadsN = 16U, VectorWidth = 4U]"
	.size	__PRETTY_FUNCTION__._ZN10amd_detail9transformIafLb1ELb1ELb0ELj16ELj16ELj4EEEvPT_PKS1_S4_T0_PKS5_S5_S7_jjjjjjbb, 344

	.type	__PRETTY_FUNCTION__._ZN10amd_detail9transformIafLb1ELb0ELb1ELj16ELj16ELj1EEEvPT_PKS1_S4_T0_PKS5_S5_S7_jjjjjjbb,@object ; @__PRETTY_FUNCTION__._ZN10amd_detail9transformIafLb1ELb0ELb1ELj16ELj16ELj1EEEvPT_PKS1_S4_T0_PKS5_S5_S7_jjjjjjbb
__PRETTY_FUNCTION__._ZN10amd_detail9transformIafLb1ELb0ELb1ELj16ELj16ELj1EEEvPT_PKS1_S4_T0_PKS5_S5_S7_jjjjjjbb:
	.asciz	"void amd_detail::transform(DType *, const DType *, const DType *, ScaleType, const ScaleType *, ScaleType, const ScaleType *, uint32_t, uint32_t, uint32_t, uint32_t, uint32_t, uint32_t, bool, bool) [DType = signed char, ScaleType = float, RowMajA = true, RowMajB = false, RowMajC = true, NumThreadsM = 16U, NumThreadsN = 16U, VectorWidth = 1U]"
	.size	__PRETTY_FUNCTION__._ZN10amd_detail9transformIafLb1ELb0ELb1ELj16ELj16ELj1EEEvPT_PKS1_S4_T0_PKS5_S5_S7_jjjjjjbb, 344

	.type	__PRETTY_FUNCTION__._ZN10amd_detail9transformIafLb1ELb0ELb1ELj16ELj16ELj4EEEvPT_PKS1_S4_T0_PKS5_S5_S7_jjjjjjbb,@object ; @__PRETTY_FUNCTION__._ZN10amd_detail9transformIafLb1ELb0ELb1ELj16ELj16ELj4EEEvPT_PKS1_S4_T0_PKS5_S5_S7_jjjjjjbb
__PRETTY_FUNCTION__._ZN10amd_detail9transformIafLb1ELb0ELb1ELj16ELj16ELj4EEEvPT_PKS1_S4_T0_PKS5_S5_S7_jjjjjjbb:
	.asciz	"void amd_detail::transform(DType *, const DType *, const DType *, ScaleType, const ScaleType *, ScaleType, const ScaleType *, uint32_t, uint32_t, uint32_t, uint32_t, uint32_t, uint32_t, bool, bool) [DType = signed char, ScaleType = float, RowMajA = true, RowMajB = false, RowMajC = true, NumThreadsM = 16U, NumThreadsN = 16U, VectorWidth = 4U]"
	.size	__PRETTY_FUNCTION__._ZN10amd_detail9transformIafLb1ELb0ELb1ELj16ELj16ELj4EEEvPT_PKS1_S4_T0_PKS5_S5_S7_jjjjjjbb, 344

	.type	__PRETTY_FUNCTION__._ZN10amd_detail9transformIafLb1ELb0ELb0ELj16ELj16ELj1EEEvPT_PKS1_S4_T0_PKS5_S5_S7_jjjjjjbb,@object ; @__PRETTY_FUNCTION__._ZN10amd_detail9transformIafLb1ELb0ELb0ELj16ELj16ELj1EEEvPT_PKS1_S4_T0_PKS5_S5_S7_jjjjjjbb
__PRETTY_FUNCTION__._ZN10amd_detail9transformIafLb1ELb0ELb0ELj16ELj16ELj1EEEvPT_PKS1_S4_T0_PKS5_S5_S7_jjjjjjbb:
	.asciz	"void amd_detail::transform(DType *, const DType *, const DType *, ScaleType, const ScaleType *, ScaleType, const ScaleType *, uint32_t, uint32_t, uint32_t, uint32_t, uint32_t, uint32_t, bool, bool) [DType = signed char, ScaleType = float, RowMajA = true, RowMajB = false, RowMajC = false, NumThreadsM = 16U, NumThreadsN = 16U, VectorWidth = 1U]"
	.size	__PRETTY_FUNCTION__._ZN10amd_detail9transformIafLb1ELb0ELb0ELj16ELj16ELj1EEEvPT_PKS1_S4_T0_PKS5_S5_S7_jjjjjjbb, 345

	.type	__PRETTY_FUNCTION__._ZN10amd_detail9transformIafLb1ELb0ELb0ELj16ELj16ELj4EEEvPT_PKS1_S4_T0_PKS5_S5_S7_jjjjjjbb,@object ; @__PRETTY_FUNCTION__._ZN10amd_detail9transformIafLb1ELb0ELb0ELj16ELj16ELj4EEEvPT_PKS1_S4_T0_PKS5_S5_S7_jjjjjjbb
__PRETTY_FUNCTION__._ZN10amd_detail9transformIafLb1ELb0ELb0ELj16ELj16ELj4EEEvPT_PKS1_S4_T0_PKS5_S5_S7_jjjjjjbb:
	.asciz	"void amd_detail::transform(DType *, const DType *, const DType *, ScaleType, const ScaleType *, ScaleType, const ScaleType *, uint32_t, uint32_t, uint32_t, uint32_t, uint32_t, uint32_t, bool, bool) [DType = signed char, ScaleType = float, RowMajA = true, RowMajB = false, RowMajC = false, NumThreadsM = 16U, NumThreadsN = 16U, VectorWidth = 4U]"
	.size	__PRETTY_FUNCTION__._ZN10amd_detail9transformIafLb1ELb0ELb0ELj16ELj16ELj4EEEvPT_PKS1_S4_T0_PKS5_S5_S7_jjjjjjbb, 345

	.type	__PRETTY_FUNCTION__._ZN10amd_detail9transformIafLb0ELb1ELb1ELj16ELj16ELj1EEEvPT_PKS1_S4_T0_PKS5_S5_S7_jjjjjjbb,@object ; @__PRETTY_FUNCTION__._ZN10amd_detail9transformIafLb0ELb1ELb1ELj16ELj16ELj1EEEvPT_PKS1_S4_T0_PKS5_S5_S7_jjjjjjbb
__PRETTY_FUNCTION__._ZN10amd_detail9transformIafLb0ELb1ELb1ELj16ELj16ELj1EEEvPT_PKS1_S4_T0_PKS5_S5_S7_jjjjjjbb:
	.asciz	"void amd_detail::transform(DType *, const DType *, const DType *, ScaleType, const ScaleType *, ScaleType, const ScaleType *, uint32_t, uint32_t, uint32_t, uint32_t, uint32_t, uint32_t, bool, bool) [DType = signed char, ScaleType = float, RowMajA = false, RowMajB = true, RowMajC = true, NumThreadsM = 16U, NumThreadsN = 16U, VectorWidth = 1U]"
	.size	__PRETTY_FUNCTION__._ZN10amd_detail9transformIafLb0ELb1ELb1ELj16ELj16ELj1EEEvPT_PKS1_S4_T0_PKS5_S5_S7_jjjjjjbb, 344

	.type	__PRETTY_FUNCTION__._ZN10amd_detail9transformIafLb0ELb1ELb1ELj16ELj16ELj4EEEvPT_PKS1_S4_T0_PKS5_S5_S7_jjjjjjbb,@object ; @__PRETTY_FUNCTION__._ZN10amd_detail9transformIafLb0ELb1ELb1ELj16ELj16ELj4EEEvPT_PKS1_S4_T0_PKS5_S5_S7_jjjjjjbb
__PRETTY_FUNCTION__._ZN10amd_detail9transformIafLb0ELb1ELb1ELj16ELj16ELj4EEEvPT_PKS1_S4_T0_PKS5_S5_S7_jjjjjjbb:
	.asciz	"void amd_detail::transform(DType *, const DType *, const DType *, ScaleType, const ScaleType *, ScaleType, const ScaleType *, uint32_t, uint32_t, uint32_t, uint32_t, uint32_t, uint32_t, bool, bool) [DType = signed char, ScaleType = float, RowMajA = false, RowMajB = true, RowMajC = true, NumThreadsM = 16U, NumThreadsN = 16U, VectorWidth = 4U]"
	.size	__PRETTY_FUNCTION__._ZN10amd_detail9transformIafLb0ELb1ELb1ELj16ELj16ELj4EEEvPT_PKS1_S4_T0_PKS5_S5_S7_jjjjjjbb, 344

	.type	__PRETTY_FUNCTION__._ZN10amd_detail9transformIafLb0ELb1ELb0ELj16ELj16ELj1EEEvPT_PKS1_S4_T0_PKS5_S5_S7_jjjjjjbb,@object ; @__PRETTY_FUNCTION__._ZN10amd_detail9transformIafLb0ELb1ELb0ELj16ELj16ELj1EEEvPT_PKS1_S4_T0_PKS5_S5_S7_jjjjjjbb
__PRETTY_FUNCTION__._ZN10amd_detail9transformIafLb0ELb1ELb0ELj16ELj16ELj1EEEvPT_PKS1_S4_T0_PKS5_S5_S7_jjjjjjbb:
	.asciz	"void amd_detail::transform(DType *, const DType *, const DType *, ScaleType, const ScaleType *, ScaleType, const ScaleType *, uint32_t, uint32_t, uint32_t, uint32_t, uint32_t, uint32_t, bool, bool) [DType = signed char, ScaleType = float, RowMajA = false, RowMajB = true, RowMajC = false, NumThreadsM = 16U, NumThreadsN = 16U, VectorWidth = 1U]"
	.size	__PRETTY_FUNCTION__._ZN10amd_detail9transformIafLb0ELb1ELb0ELj16ELj16ELj1EEEvPT_PKS1_S4_T0_PKS5_S5_S7_jjjjjjbb, 345

	.type	__PRETTY_FUNCTION__._ZN10amd_detail9transformIafLb0ELb1ELb0ELj16ELj16ELj4EEEvPT_PKS1_S4_T0_PKS5_S5_S7_jjjjjjbb,@object ; @__PRETTY_FUNCTION__._ZN10amd_detail9transformIafLb0ELb1ELb0ELj16ELj16ELj4EEEvPT_PKS1_S4_T0_PKS5_S5_S7_jjjjjjbb
__PRETTY_FUNCTION__._ZN10amd_detail9transformIafLb0ELb1ELb0ELj16ELj16ELj4EEEvPT_PKS1_S4_T0_PKS5_S5_S7_jjjjjjbb:
	.asciz	"void amd_detail::transform(DType *, const DType *, const DType *, ScaleType, const ScaleType *, ScaleType, const ScaleType *, uint32_t, uint32_t, uint32_t, uint32_t, uint32_t, uint32_t, bool, bool) [DType = signed char, ScaleType = float, RowMajA = false, RowMajB = true, RowMajC = false, NumThreadsM = 16U, NumThreadsN = 16U, VectorWidth = 4U]"
	.size	__PRETTY_FUNCTION__._ZN10amd_detail9transformIafLb0ELb1ELb0ELj16ELj16ELj4EEEvPT_PKS1_S4_T0_PKS5_S5_S7_jjjjjjbb, 345

	.type	__PRETTY_FUNCTION__._ZN10amd_detail9transformIafLb0ELb0ELb1ELj16ELj16ELj1EEEvPT_PKS1_S4_T0_PKS5_S5_S7_jjjjjjbb,@object ; @__PRETTY_FUNCTION__._ZN10amd_detail9transformIafLb0ELb0ELb1ELj16ELj16ELj1EEEvPT_PKS1_S4_T0_PKS5_S5_S7_jjjjjjbb
__PRETTY_FUNCTION__._ZN10amd_detail9transformIafLb0ELb0ELb1ELj16ELj16ELj1EEEvPT_PKS1_S4_T0_PKS5_S5_S7_jjjjjjbb:
	.asciz	"void amd_detail::transform(DType *, const DType *, const DType *, ScaleType, const ScaleType *, ScaleType, const ScaleType *, uint32_t, uint32_t, uint32_t, uint32_t, uint32_t, uint32_t, bool, bool) [DType = signed char, ScaleType = float, RowMajA = false, RowMajB = false, RowMajC = true, NumThreadsM = 16U, NumThreadsN = 16U, VectorWidth = 1U]"
	.size	__PRETTY_FUNCTION__._ZN10amd_detail9transformIafLb0ELb0ELb1ELj16ELj16ELj1EEEvPT_PKS1_S4_T0_PKS5_S5_S7_jjjjjjbb, 345

	.type	__PRETTY_FUNCTION__._ZN10amd_detail9transformIafLb0ELb0ELb1ELj16ELj16ELj4EEEvPT_PKS1_S4_T0_PKS5_S5_S7_jjjjjjbb,@object ; @__PRETTY_FUNCTION__._ZN10amd_detail9transformIafLb0ELb0ELb1ELj16ELj16ELj4EEEvPT_PKS1_S4_T0_PKS5_S5_S7_jjjjjjbb
__PRETTY_FUNCTION__._ZN10amd_detail9transformIafLb0ELb0ELb1ELj16ELj16ELj4EEEvPT_PKS1_S4_T0_PKS5_S5_S7_jjjjjjbb:
	.asciz	"void amd_detail::transform(DType *, const DType *, const DType *, ScaleType, const ScaleType *, ScaleType, const ScaleType *, uint32_t, uint32_t, uint32_t, uint32_t, uint32_t, uint32_t, bool, bool) [DType = signed char, ScaleType = float, RowMajA = false, RowMajB = false, RowMajC = true, NumThreadsM = 16U, NumThreadsN = 16U, VectorWidth = 4U]"
	.size	__PRETTY_FUNCTION__._ZN10amd_detail9transformIafLb0ELb0ELb1ELj16ELj16ELj4EEEvPT_PKS1_S4_T0_PKS5_S5_S7_jjjjjjbb, 345

	.type	__PRETTY_FUNCTION__._ZN10amd_detail9transformIafLb0ELb0ELb0ELj16ELj16ELj1EEEvPT_PKS1_S4_T0_PKS5_S5_S7_jjjjjjbb,@object ; @__PRETTY_FUNCTION__._ZN10amd_detail9transformIafLb0ELb0ELb0ELj16ELj16ELj1EEEvPT_PKS1_S4_T0_PKS5_S5_S7_jjjjjjbb
__PRETTY_FUNCTION__._ZN10amd_detail9transformIafLb0ELb0ELb0ELj16ELj16ELj1EEEvPT_PKS1_S4_T0_PKS5_S5_S7_jjjjjjbb:
	.asciz	"void amd_detail::transform(DType *, const DType *, const DType *, ScaleType, const ScaleType *, ScaleType, const ScaleType *, uint32_t, uint32_t, uint32_t, uint32_t, uint32_t, uint32_t, bool, bool) [DType = signed char, ScaleType = float, RowMajA = false, RowMajB = false, RowMajC = false, NumThreadsM = 16U, NumThreadsN = 16U, VectorWidth = 1U]"
	.size	__PRETTY_FUNCTION__._ZN10amd_detail9transformIafLb0ELb0ELb0ELj16ELj16ELj1EEEvPT_PKS1_S4_T0_PKS5_S5_S7_jjjjjjbb, 346

	.type	__PRETTY_FUNCTION__._ZN10amd_detail9transformIafLb0ELb0ELb0ELj16ELj16ELj4EEEvPT_PKS1_S4_T0_PKS5_S5_S7_jjjjjjbb,@object ; @__PRETTY_FUNCTION__._ZN10amd_detail9transformIafLb0ELb0ELb0ELj16ELj16ELj4EEEvPT_PKS1_S4_T0_PKS5_S5_S7_jjjjjjbb
__PRETTY_FUNCTION__._ZN10amd_detail9transformIafLb0ELb0ELb0ELj16ELj16ELj4EEEvPT_PKS1_S4_T0_PKS5_S5_S7_jjjjjjbb:
	.asciz	"void amd_detail::transform(DType *, const DType *, const DType *, ScaleType, const ScaleType *, ScaleType, const ScaleType *, uint32_t, uint32_t, uint32_t, uint32_t, uint32_t, uint32_t, bool, bool) [DType = signed char, ScaleType = float, RowMajA = false, RowMajB = false, RowMajC = false, NumThreadsM = 16U, NumThreadsN = 16U, VectorWidth = 4U]"
	.size	__PRETTY_FUNCTION__._ZN10amd_detail9transformIafLb0ELb0ELb0ELj16ELj16ELj4EEEvPT_PKS1_S4_T0_PKS5_S5_S7_jjjjjjbb, 346

	.type	__PRETTY_FUNCTION__._ZN10amd_detail9transformIifLb1ELb1ELb1ELj16ELj16ELj1EEEvPT_PKS1_S4_T0_PKS5_S5_S7_jjjjjjbb,@object ; @__PRETTY_FUNCTION__._ZN10amd_detail9transformIifLb1ELb1ELb1ELj16ELj16ELj1EEEvPT_PKS1_S4_T0_PKS5_S5_S7_jjjjjjbb
__PRETTY_FUNCTION__._ZN10amd_detail9transformIifLb1ELb1ELb1ELj16ELj16ELj1EEEvPT_PKS1_S4_T0_PKS5_S5_S7_jjjjjjbb:
	.asciz	"void amd_detail::transform(DType *, const DType *, const DType *, ScaleType, const ScaleType *, ScaleType, const ScaleType *, uint32_t, uint32_t, uint32_t, uint32_t, uint32_t, uint32_t, bool, bool) [DType = int, ScaleType = float, RowMajA = true, RowMajB = true, RowMajC = true, NumThreadsM = 16U, NumThreadsN = 16U, VectorWidth = 1U]"
	.size	__PRETTY_FUNCTION__._ZN10amd_detail9transformIifLb1ELb1ELb1ELj16ELj16ELj1EEEvPT_PKS1_S4_T0_PKS5_S5_S7_jjjjjjbb, 335

	.type	__PRETTY_FUNCTION__._ZN10amd_detail9transformIifLb1ELb1ELb1ELj16ELj16ELj4EEEvPT_PKS1_S4_T0_PKS5_S5_S7_jjjjjjbb,@object ; @__PRETTY_FUNCTION__._ZN10amd_detail9transformIifLb1ELb1ELb1ELj16ELj16ELj4EEEvPT_PKS1_S4_T0_PKS5_S5_S7_jjjjjjbb
__PRETTY_FUNCTION__._ZN10amd_detail9transformIifLb1ELb1ELb1ELj16ELj16ELj4EEEvPT_PKS1_S4_T0_PKS5_S5_S7_jjjjjjbb:
	.asciz	"void amd_detail::transform(DType *, const DType *, const DType *, ScaleType, const ScaleType *, ScaleType, const ScaleType *, uint32_t, uint32_t, uint32_t, uint32_t, uint32_t, uint32_t, bool, bool) [DType = int, ScaleType = float, RowMajA = true, RowMajB = true, RowMajC = true, NumThreadsM = 16U, NumThreadsN = 16U, VectorWidth = 4U]"
	.size	__PRETTY_FUNCTION__._ZN10amd_detail9transformIifLb1ELb1ELb1ELj16ELj16ELj4EEEvPT_PKS1_S4_T0_PKS5_S5_S7_jjjjjjbb, 335

	.type	__PRETTY_FUNCTION__._ZN10amd_detail9transformIifLb1ELb1ELb0ELj16ELj16ELj1EEEvPT_PKS1_S4_T0_PKS5_S5_S7_jjjjjjbb,@object ; @__PRETTY_FUNCTION__._ZN10amd_detail9transformIifLb1ELb1ELb0ELj16ELj16ELj1EEEvPT_PKS1_S4_T0_PKS5_S5_S7_jjjjjjbb
__PRETTY_FUNCTION__._ZN10amd_detail9transformIifLb1ELb1ELb0ELj16ELj16ELj1EEEvPT_PKS1_S4_T0_PKS5_S5_S7_jjjjjjbb:
	.asciz	"void amd_detail::transform(DType *, const DType *, const DType *, ScaleType, const ScaleType *, ScaleType, const ScaleType *, uint32_t, uint32_t, uint32_t, uint32_t, uint32_t, uint32_t, bool, bool) [DType = int, ScaleType = float, RowMajA = true, RowMajB = true, RowMajC = false, NumThreadsM = 16U, NumThreadsN = 16U, VectorWidth = 1U]"
	.size	__PRETTY_FUNCTION__._ZN10amd_detail9transformIifLb1ELb1ELb0ELj16ELj16ELj1EEEvPT_PKS1_S4_T0_PKS5_S5_S7_jjjjjjbb, 336

	.type	__PRETTY_FUNCTION__._ZN10amd_detail9transformIifLb1ELb1ELb0ELj16ELj16ELj4EEEvPT_PKS1_S4_T0_PKS5_S5_S7_jjjjjjbb,@object ; @__PRETTY_FUNCTION__._ZN10amd_detail9transformIifLb1ELb1ELb0ELj16ELj16ELj4EEEvPT_PKS1_S4_T0_PKS5_S5_S7_jjjjjjbb
__PRETTY_FUNCTION__._ZN10amd_detail9transformIifLb1ELb1ELb0ELj16ELj16ELj4EEEvPT_PKS1_S4_T0_PKS5_S5_S7_jjjjjjbb:
	.asciz	"void amd_detail::transform(DType *, const DType *, const DType *, ScaleType, const ScaleType *, ScaleType, const ScaleType *, uint32_t, uint32_t, uint32_t, uint32_t, uint32_t, uint32_t, bool, bool) [DType = int, ScaleType = float, RowMajA = true, RowMajB = true, RowMajC = false, NumThreadsM = 16U, NumThreadsN = 16U, VectorWidth = 4U]"
	.size	__PRETTY_FUNCTION__._ZN10amd_detail9transformIifLb1ELb1ELb0ELj16ELj16ELj4EEEvPT_PKS1_S4_T0_PKS5_S5_S7_jjjjjjbb, 336

	.type	__PRETTY_FUNCTION__._ZN10amd_detail9transformIifLb1ELb0ELb1ELj16ELj16ELj1EEEvPT_PKS1_S4_T0_PKS5_S5_S7_jjjjjjbb,@object ; @__PRETTY_FUNCTION__._ZN10amd_detail9transformIifLb1ELb0ELb1ELj16ELj16ELj1EEEvPT_PKS1_S4_T0_PKS5_S5_S7_jjjjjjbb
__PRETTY_FUNCTION__._ZN10amd_detail9transformIifLb1ELb0ELb1ELj16ELj16ELj1EEEvPT_PKS1_S4_T0_PKS5_S5_S7_jjjjjjbb:
	.asciz	"void amd_detail::transform(DType *, const DType *, const DType *, ScaleType, const ScaleType *, ScaleType, const ScaleType *, uint32_t, uint32_t, uint32_t, uint32_t, uint32_t, uint32_t, bool, bool) [DType = int, ScaleType = float, RowMajA = true, RowMajB = false, RowMajC = true, NumThreadsM = 16U, NumThreadsN = 16U, VectorWidth = 1U]"
	.size	__PRETTY_FUNCTION__._ZN10amd_detail9transformIifLb1ELb0ELb1ELj16ELj16ELj1EEEvPT_PKS1_S4_T0_PKS5_S5_S7_jjjjjjbb, 336

	.type	__PRETTY_FUNCTION__._ZN10amd_detail9transformIifLb1ELb0ELb1ELj16ELj16ELj4EEEvPT_PKS1_S4_T0_PKS5_S5_S7_jjjjjjbb,@object ; @__PRETTY_FUNCTION__._ZN10amd_detail9transformIifLb1ELb0ELb1ELj16ELj16ELj4EEEvPT_PKS1_S4_T0_PKS5_S5_S7_jjjjjjbb
__PRETTY_FUNCTION__._ZN10amd_detail9transformIifLb1ELb0ELb1ELj16ELj16ELj4EEEvPT_PKS1_S4_T0_PKS5_S5_S7_jjjjjjbb:
	.asciz	"void amd_detail::transform(DType *, const DType *, const DType *, ScaleType, const ScaleType *, ScaleType, const ScaleType *, uint32_t, uint32_t, uint32_t, uint32_t, uint32_t, uint32_t, bool, bool) [DType = int, ScaleType = float, RowMajA = true, RowMajB = false, RowMajC = true, NumThreadsM = 16U, NumThreadsN = 16U, VectorWidth = 4U]"
	.size	__PRETTY_FUNCTION__._ZN10amd_detail9transformIifLb1ELb0ELb1ELj16ELj16ELj4EEEvPT_PKS1_S4_T0_PKS5_S5_S7_jjjjjjbb, 336

	.type	__PRETTY_FUNCTION__._ZN10amd_detail9transformIifLb1ELb0ELb0ELj16ELj16ELj1EEEvPT_PKS1_S4_T0_PKS5_S5_S7_jjjjjjbb,@object ; @__PRETTY_FUNCTION__._ZN10amd_detail9transformIifLb1ELb0ELb0ELj16ELj16ELj1EEEvPT_PKS1_S4_T0_PKS5_S5_S7_jjjjjjbb
__PRETTY_FUNCTION__._ZN10amd_detail9transformIifLb1ELb0ELb0ELj16ELj16ELj1EEEvPT_PKS1_S4_T0_PKS5_S5_S7_jjjjjjbb:
	.asciz	"void amd_detail::transform(DType *, const DType *, const DType *, ScaleType, const ScaleType *, ScaleType, const ScaleType *, uint32_t, uint32_t, uint32_t, uint32_t, uint32_t, uint32_t, bool, bool) [DType = int, ScaleType = float, RowMajA = true, RowMajB = false, RowMajC = false, NumThreadsM = 16U, NumThreadsN = 16U, VectorWidth = 1U]"
	.size	__PRETTY_FUNCTION__._ZN10amd_detail9transformIifLb1ELb0ELb0ELj16ELj16ELj1EEEvPT_PKS1_S4_T0_PKS5_S5_S7_jjjjjjbb, 337

	.type	__PRETTY_FUNCTION__._ZN10amd_detail9transformIifLb1ELb0ELb0ELj16ELj16ELj4EEEvPT_PKS1_S4_T0_PKS5_S5_S7_jjjjjjbb,@object ; @__PRETTY_FUNCTION__._ZN10amd_detail9transformIifLb1ELb0ELb0ELj16ELj16ELj4EEEvPT_PKS1_S4_T0_PKS5_S5_S7_jjjjjjbb
__PRETTY_FUNCTION__._ZN10amd_detail9transformIifLb1ELb0ELb0ELj16ELj16ELj4EEEvPT_PKS1_S4_T0_PKS5_S5_S7_jjjjjjbb:
	.asciz	"void amd_detail::transform(DType *, const DType *, const DType *, ScaleType, const ScaleType *, ScaleType, const ScaleType *, uint32_t, uint32_t, uint32_t, uint32_t, uint32_t, uint32_t, bool, bool) [DType = int, ScaleType = float, RowMajA = true, RowMajB = false, RowMajC = false, NumThreadsM = 16U, NumThreadsN = 16U, VectorWidth = 4U]"
	.size	__PRETTY_FUNCTION__._ZN10amd_detail9transformIifLb1ELb0ELb0ELj16ELj16ELj4EEEvPT_PKS1_S4_T0_PKS5_S5_S7_jjjjjjbb, 337

	.type	__PRETTY_FUNCTION__._ZN10amd_detail9transformIifLb0ELb1ELb1ELj16ELj16ELj1EEEvPT_PKS1_S4_T0_PKS5_S5_S7_jjjjjjbb,@object ; @__PRETTY_FUNCTION__._ZN10amd_detail9transformIifLb0ELb1ELb1ELj16ELj16ELj1EEEvPT_PKS1_S4_T0_PKS5_S5_S7_jjjjjjbb
__PRETTY_FUNCTION__._ZN10amd_detail9transformIifLb0ELb1ELb1ELj16ELj16ELj1EEEvPT_PKS1_S4_T0_PKS5_S5_S7_jjjjjjbb:
	.asciz	"void amd_detail::transform(DType *, const DType *, const DType *, ScaleType, const ScaleType *, ScaleType, const ScaleType *, uint32_t, uint32_t, uint32_t, uint32_t, uint32_t, uint32_t, bool, bool) [DType = int, ScaleType = float, RowMajA = false, RowMajB = true, RowMajC = true, NumThreadsM = 16U, NumThreadsN = 16U, VectorWidth = 1U]"
	.size	__PRETTY_FUNCTION__._ZN10amd_detail9transformIifLb0ELb1ELb1ELj16ELj16ELj1EEEvPT_PKS1_S4_T0_PKS5_S5_S7_jjjjjjbb, 336

	.type	__PRETTY_FUNCTION__._ZN10amd_detail9transformIifLb0ELb1ELb1ELj16ELj16ELj4EEEvPT_PKS1_S4_T0_PKS5_S5_S7_jjjjjjbb,@object ; @__PRETTY_FUNCTION__._ZN10amd_detail9transformIifLb0ELb1ELb1ELj16ELj16ELj4EEEvPT_PKS1_S4_T0_PKS5_S5_S7_jjjjjjbb
__PRETTY_FUNCTION__._ZN10amd_detail9transformIifLb0ELb1ELb1ELj16ELj16ELj4EEEvPT_PKS1_S4_T0_PKS5_S5_S7_jjjjjjbb:
	.asciz	"void amd_detail::transform(DType *, const DType *, const DType *, ScaleType, const ScaleType *, ScaleType, const ScaleType *, uint32_t, uint32_t, uint32_t, uint32_t, uint32_t, uint32_t, bool, bool) [DType = int, ScaleType = float, RowMajA = false, RowMajB = true, RowMajC = true, NumThreadsM = 16U, NumThreadsN = 16U, VectorWidth = 4U]"
	.size	__PRETTY_FUNCTION__._ZN10amd_detail9transformIifLb0ELb1ELb1ELj16ELj16ELj4EEEvPT_PKS1_S4_T0_PKS5_S5_S7_jjjjjjbb, 336

	.type	__PRETTY_FUNCTION__._ZN10amd_detail9transformIifLb0ELb1ELb0ELj16ELj16ELj1EEEvPT_PKS1_S4_T0_PKS5_S5_S7_jjjjjjbb,@object ; @__PRETTY_FUNCTION__._ZN10amd_detail9transformIifLb0ELb1ELb0ELj16ELj16ELj1EEEvPT_PKS1_S4_T0_PKS5_S5_S7_jjjjjjbb
__PRETTY_FUNCTION__._ZN10amd_detail9transformIifLb0ELb1ELb0ELj16ELj16ELj1EEEvPT_PKS1_S4_T0_PKS5_S5_S7_jjjjjjbb:
	.asciz	"void amd_detail::transform(DType *, const DType *, const DType *, ScaleType, const ScaleType *, ScaleType, const ScaleType *, uint32_t, uint32_t, uint32_t, uint32_t, uint32_t, uint32_t, bool, bool) [DType = int, ScaleType = float, RowMajA = false, RowMajB = true, RowMajC = false, NumThreadsM = 16U, NumThreadsN = 16U, VectorWidth = 1U]"
	.size	__PRETTY_FUNCTION__._ZN10amd_detail9transformIifLb0ELb1ELb0ELj16ELj16ELj1EEEvPT_PKS1_S4_T0_PKS5_S5_S7_jjjjjjbb, 337

	.type	__PRETTY_FUNCTION__._ZN10amd_detail9transformIifLb0ELb1ELb0ELj16ELj16ELj4EEEvPT_PKS1_S4_T0_PKS5_S5_S7_jjjjjjbb,@object ; @__PRETTY_FUNCTION__._ZN10amd_detail9transformIifLb0ELb1ELb0ELj16ELj16ELj4EEEvPT_PKS1_S4_T0_PKS5_S5_S7_jjjjjjbb
__PRETTY_FUNCTION__._ZN10amd_detail9transformIifLb0ELb1ELb0ELj16ELj16ELj4EEEvPT_PKS1_S4_T0_PKS5_S5_S7_jjjjjjbb:
	.asciz	"void amd_detail::transform(DType *, const DType *, const DType *, ScaleType, const ScaleType *, ScaleType, const ScaleType *, uint32_t, uint32_t, uint32_t, uint32_t, uint32_t, uint32_t, bool, bool) [DType = int, ScaleType = float, RowMajA = false, RowMajB = true, RowMajC = false, NumThreadsM = 16U, NumThreadsN = 16U, VectorWidth = 4U]"
	.size	__PRETTY_FUNCTION__._ZN10amd_detail9transformIifLb0ELb1ELb0ELj16ELj16ELj4EEEvPT_PKS1_S4_T0_PKS5_S5_S7_jjjjjjbb, 337

	.type	__PRETTY_FUNCTION__._ZN10amd_detail9transformIifLb0ELb0ELb1ELj16ELj16ELj1EEEvPT_PKS1_S4_T0_PKS5_S5_S7_jjjjjjbb,@object ; @__PRETTY_FUNCTION__._ZN10amd_detail9transformIifLb0ELb0ELb1ELj16ELj16ELj1EEEvPT_PKS1_S4_T0_PKS5_S5_S7_jjjjjjbb
__PRETTY_FUNCTION__._ZN10amd_detail9transformIifLb0ELb0ELb1ELj16ELj16ELj1EEEvPT_PKS1_S4_T0_PKS5_S5_S7_jjjjjjbb:
	.asciz	"void amd_detail::transform(DType *, const DType *, const DType *, ScaleType, const ScaleType *, ScaleType, const ScaleType *, uint32_t, uint32_t, uint32_t, uint32_t, uint32_t, uint32_t, bool, bool) [DType = int, ScaleType = float, RowMajA = false, RowMajB = false, RowMajC = true, NumThreadsM = 16U, NumThreadsN = 16U, VectorWidth = 1U]"
	.size	__PRETTY_FUNCTION__._ZN10amd_detail9transformIifLb0ELb0ELb1ELj16ELj16ELj1EEEvPT_PKS1_S4_T0_PKS5_S5_S7_jjjjjjbb, 337

	.type	__PRETTY_FUNCTION__._ZN10amd_detail9transformIifLb0ELb0ELb1ELj16ELj16ELj4EEEvPT_PKS1_S4_T0_PKS5_S5_S7_jjjjjjbb,@object ; @__PRETTY_FUNCTION__._ZN10amd_detail9transformIifLb0ELb0ELb1ELj16ELj16ELj4EEEvPT_PKS1_S4_T0_PKS5_S5_S7_jjjjjjbb
__PRETTY_FUNCTION__._ZN10amd_detail9transformIifLb0ELb0ELb1ELj16ELj16ELj4EEEvPT_PKS1_S4_T0_PKS5_S5_S7_jjjjjjbb:
	.asciz	"void amd_detail::transform(DType *, const DType *, const DType *, ScaleType, const ScaleType *, ScaleType, const ScaleType *, uint32_t, uint32_t, uint32_t, uint32_t, uint32_t, uint32_t, bool, bool) [DType = int, ScaleType = float, RowMajA = false, RowMajB = false, RowMajC = true, NumThreadsM = 16U, NumThreadsN = 16U, VectorWidth = 4U]"
	.size	__PRETTY_FUNCTION__._ZN10amd_detail9transformIifLb0ELb0ELb1ELj16ELj16ELj4EEEvPT_PKS1_S4_T0_PKS5_S5_S7_jjjjjjbb, 337

	.type	__PRETTY_FUNCTION__._ZN10amd_detail9transformIifLb0ELb0ELb0ELj16ELj16ELj1EEEvPT_PKS1_S4_T0_PKS5_S5_S7_jjjjjjbb,@object ; @__PRETTY_FUNCTION__._ZN10amd_detail9transformIifLb0ELb0ELb0ELj16ELj16ELj1EEEvPT_PKS1_S4_T0_PKS5_S5_S7_jjjjjjbb
__PRETTY_FUNCTION__._ZN10amd_detail9transformIifLb0ELb0ELb0ELj16ELj16ELj1EEEvPT_PKS1_S4_T0_PKS5_S5_S7_jjjjjjbb:
	.asciz	"void amd_detail::transform(DType *, const DType *, const DType *, ScaleType, const ScaleType *, ScaleType, const ScaleType *, uint32_t, uint32_t, uint32_t, uint32_t, uint32_t, uint32_t, bool, bool) [DType = int, ScaleType = float, RowMajA = false, RowMajB = false, RowMajC = false, NumThreadsM = 16U, NumThreadsN = 16U, VectorWidth = 1U]"
	.size	__PRETTY_FUNCTION__._ZN10amd_detail9transformIifLb0ELb0ELb0ELj16ELj16ELj1EEEvPT_PKS1_S4_T0_PKS5_S5_S7_jjjjjjbb, 338

	.type	__PRETTY_FUNCTION__._ZN10amd_detail9transformIifLb0ELb0ELb0ELj16ELj16ELj4EEEvPT_PKS1_S4_T0_PKS5_S5_S7_jjjjjjbb,@object ; @__PRETTY_FUNCTION__._ZN10amd_detail9transformIifLb0ELb0ELb0ELj16ELj16ELj4EEEvPT_PKS1_S4_T0_PKS5_S5_S7_jjjjjjbb
__PRETTY_FUNCTION__._ZN10amd_detail9transformIifLb0ELb0ELb0ELj16ELj16ELj4EEEvPT_PKS1_S4_T0_PKS5_S5_S7_jjjjjjbb:
	.asciz	"void amd_detail::transform(DType *, const DType *, const DType *, ScaleType, const ScaleType *, ScaleType, const ScaleType *, uint32_t, uint32_t, uint32_t, uint32_t, uint32_t, uint32_t, bool, bool) [DType = int, ScaleType = float, RowMajA = false, RowMajB = false, RowMajC = false, NumThreadsM = 16U, NumThreadsN = 16U, VectorWidth = 4U]"
	.size	__PRETTY_FUNCTION__._ZN10amd_detail9transformIifLb0ELb0ELb0ELj16ELj16ELj4EEEvPT_PKS1_S4_T0_PKS5_S5_S7_jjjjjjbb, 338

	.type	__hip_cuid_70b72e7d7a88bd28,@object ; @__hip_cuid_70b72e7d7a88bd28
	.section	.bss,"aw",@nobits
	.globl	__hip_cuid_70b72e7d7a88bd28
__hip_cuid_70b72e7d7a88bd28:
	.byte	0                               ; 0x0
	.size	__hip_cuid_70b72e7d7a88bd28, 1

	.ident	"AMD clang version 19.0.0git (https://github.com/RadeonOpenCompute/llvm-project roc-6.4.0 25133 c7fe45cf4b819c5991fe208aaa96edf142730f1d)"
	.section	".note.GNU-stack","",@progbits
	.addrsig
	.addrsig_sym __hip_cuid_70b72e7d7a88bd28
	.amdgpu_metadata
---
amdhsa.kernels:
  - .args:
      - .address_space:  global
        .offset:         0
        .size:           8
        .value_kind:     global_buffer
      - .address_space:  global
        .offset:         8
        .size:           8
        .value_kind:     global_buffer
      - .address_space:  global
        .offset:         16
        .size:           8
        .value_kind:     global_buffer
      - .offset:         24
        .size:           4
        .value_kind:     by_value
      - .address_space:  global
        .offset:         32
        .size:           8
        .value_kind:     global_buffer
      - .offset:         40
        .size:           4
        .value_kind:     by_value
      - .address_space:  global
        .offset:         48
        .size:           8
        .value_kind:     global_buffer
      - .offset:         56
        .size:           4
        .value_kind:     by_value
      - .offset:         60
        .size:           4
        .value_kind:     by_value
      - .offset:         64
        .size:           4
        .value_kind:     by_value
      - .offset:         68
        .size:           4
        .value_kind:     by_value
      - .offset:         72
        .size:           4
        .value_kind:     by_value
      - .offset:         76
        .size:           4
        .value_kind:     by_value
      - .offset:         80
        .size:           1
        .value_kind:     by_value
      - .offset:         81
        .size:           1
        .value_kind:     by_value
      - .offset:         88
        .size:           4
        .value_kind:     hidden_block_count_x
      - .offset:         92
        .size:           4
        .value_kind:     hidden_block_count_y
      - .offset:         96
        .size:           4
        .value_kind:     hidden_block_count_z
      - .offset:         100
        .size:           2
        .value_kind:     hidden_group_size_x
      - .offset:         102
        .size:           2
        .value_kind:     hidden_group_size_y
      - .offset:         104
        .size:           2
        .value_kind:     hidden_group_size_z
      - .offset:         106
        .size:           2
        .value_kind:     hidden_remainder_x
      - .offset:         108
        .size:           2
        .value_kind:     hidden_remainder_y
      - .offset:         110
        .size:           2
        .value_kind:     hidden_remainder_z
      - .offset:         128
        .size:           8
        .value_kind:     hidden_global_offset_x
      - .offset:         136
        .size:           8
        .value_kind:     hidden_global_offset_y
      - .offset:         144
        .size:           8
        .value_kind:     hidden_global_offset_z
      - .offset:         152
        .size:           2
        .value_kind:     hidden_grid_dims
      - .offset:         168
        .size:           8
        .value_kind:     hidden_hostcall_buffer
    .group_segment_fixed_size: 0
    .kernarg_segment_align: 8
    .kernarg_segment_size: 344
    .language:       OpenCL C
    .language_version:
      - 2
      - 0
    .max_flat_workgroup_size: 1024
    .name:           Transform_S_S_111_16_16_VW_1
    .private_segment_fixed_size: 64
    .sgpr_count:     36
    .sgpr_spill_count: 0
    .symbol:         Transform_S_S_111_16_16_VW_1.kd
    .uniform_work_group_size: 1
    .uses_dynamic_stack: false
    .vgpr_count:     42
    .vgpr_spill_count: 0
    .wavefront_size: 32
    .workgroup_processor_mode: 1
  - .args:
      - .address_space:  global
        .offset:         0
        .size:           8
        .value_kind:     global_buffer
      - .address_space:  global
        .offset:         8
        .size:           8
        .value_kind:     global_buffer
      - .address_space:  global
        .offset:         16
        .size:           8
        .value_kind:     global_buffer
      - .offset:         24
        .size:           4
        .value_kind:     by_value
      - .address_space:  global
        .offset:         32
        .size:           8
        .value_kind:     global_buffer
      - .offset:         40
        .size:           4
        .value_kind:     by_value
      - .address_space:  global
        .offset:         48
        .size:           8
        .value_kind:     global_buffer
      - .offset:         56
        .size:           4
        .value_kind:     by_value
      - .offset:         60
        .size:           4
        .value_kind:     by_value
      - .offset:         64
        .size:           4
        .value_kind:     by_value
      - .offset:         68
        .size:           4
        .value_kind:     by_value
      - .offset:         72
        .size:           4
        .value_kind:     by_value
      - .offset:         76
        .size:           4
        .value_kind:     by_value
      - .offset:         80
        .size:           1
        .value_kind:     by_value
      - .offset:         81
        .size:           1
        .value_kind:     by_value
      - .offset:         88
        .size:           4
        .value_kind:     hidden_block_count_x
      - .offset:         92
        .size:           4
        .value_kind:     hidden_block_count_y
      - .offset:         96
        .size:           4
        .value_kind:     hidden_block_count_z
      - .offset:         100
        .size:           2
        .value_kind:     hidden_group_size_x
      - .offset:         102
        .size:           2
        .value_kind:     hidden_group_size_y
      - .offset:         104
        .size:           2
        .value_kind:     hidden_group_size_z
      - .offset:         106
        .size:           2
        .value_kind:     hidden_remainder_x
      - .offset:         108
        .size:           2
        .value_kind:     hidden_remainder_y
      - .offset:         110
        .size:           2
        .value_kind:     hidden_remainder_z
      - .offset:         128
        .size:           8
        .value_kind:     hidden_global_offset_x
      - .offset:         136
        .size:           8
        .value_kind:     hidden_global_offset_y
      - .offset:         144
        .size:           8
        .value_kind:     hidden_global_offset_z
      - .offset:         152
        .size:           2
        .value_kind:     hidden_grid_dims
      - .offset:         168
        .size:           8
        .value_kind:     hidden_hostcall_buffer
    .group_segment_fixed_size: 0
    .kernarg_segment_align: 8
    .kernarg_segment_size: 344
    .language:       OpenCL C
    .language_version:
      - 2
      - 0
    .max_flat_workgroup_size: 1024
    .name:           Transform_S_S_111_16_16_VW_4
    .private_segment_fixed_size: 64
    .sgpr_count:     36
    .sgpr_spill_count: 0
    .symbol:         Transform_S_S_111_16_16_VW_4.kd
    .uniform_work_group_size: 1
    .uses_dynamic_stack: false
    .vgpr_count:     42
    .vgpr_spill_count: 0
    .wavefront_size: 32
    .workgroup_processor_mode: 1
  - .args:
      - .address_space:  global
        .offset:         0
        .size:           8
        .value_kind:     global_buffer
      - .address_space:  global
        .offset:         8
        .size:           8
        .value_kind:     global_buffer
      - .address_space:  global
        .offset:         16
        .size:           8
        .value_kind:     global_buffer
      - .offset:         24
        .size:           4
        .value_kind:     by_value
      - .address_space:  global
        .offset:         32
        .size:           8
        .value_kind:     global_buffer
      - .offset:         40
        .size:           4
        .value_kind:     by_value
      - .address_space:  global
        .offset:         48
        .size:           8
        .value_kind:     global_buffer
      - .offset:         56
        .size:           4
        .value_kind:     by_value
      - .offset:         60
        .size:           4
        .value_kind:     by_value
      - .offset:         64
        .size:           4
        .value_kind:     by_value
      - .offset:         68
        .size:           4
        .value_kind:     by_value
      - .offset:         72
        .size:           4
        .value_kind:     by_value
      - .offset:         76
        .size:           4
        .value_kind:     by_value
      - .offset:         80
        .size:           1
        .value_kind:     by_value
      - .offset:         81
        .size:           1
        .value_kind:     by_value
      - .offset:         88
        .size:           4
        .value_kind:     hidden_block_count_x
      - .offset:         92
        .size:           4
        .value_kind:     hidden_block_count_y
      - .offset:         96
        .size:           4
        .value_kind:     hidden_block_count_z
      - .offset:         100
        .size:           2
        .value_kind:     hidden_group_size_x
      - .offset:         102
        .size:           2
        .value_kind:     hidden_group_size_y
      - .offset:         104
        .size:           2
        .value_kind:     hidden_group_size_z
      - .offset:         106
        .size:           2
        .value_kind:     hidden_remainder_x
      - .offset:         108
        .size:           2
        .value_kind:     hidden_remainder_y
      - .offset:         110
        .size:           2
        .value_kind:     hidden_remainder_z
      - .offset:         128
        .size:           8
        .value_kind:     hidden_global_offset_x
      - .offset:         136
        .size:           8
        .value_kind:     hidden_global_offset_y
      - .offset:         144
        .size:           8
        .value_kind:     hidden_global_offset_z
      - .offset:         152
        .size:           2
        .value_kind:     hidden_grid_dims
      - .offset:         168
        .size:           8
        .value_kind:     hidden_hostcall_buffer
    .group_segment_fixed_size: 0
    .kernarg_segment_align: 8
    .kernarg_segment_size: 344
    .language:       OpenCL C
    .language_version:
      - 2
      - 0
    .max_flat_workgroup_size: 1024
    .name:           Transform_S_S_110_16_16_VW_1
    .private_segment_fixed_size: 64
    .sgpr_count:     36
    .sgpr_spill_count: 0
    .symbol:         Transform_S_S_110_16_16_VW_1.kd
    .uniform_work_group_size: 1
    .uses_dynamic_stack: false
    .vgpr_count:     42
    .vgpr_spill_count: 0
    .wavefront_size: 32
    .workgroup_processor_mode: 1
  - .args:
      - .address_space:  global
        .offset:         0
        .size:           8
        .value_kind:     global_buffer
      - .address_space:  global
        .offset:         8
        .size:           8
        .value_kind:     global_buffer
      - .address_space:  global
        .offset:         16
        .size:           8
        .value_kind:     global_buffer
      - .offset:         24
        .size:           4
        .value_kind:     by_value
      - .address_space:  global
        .offset:         32
        .size:           8
        .value_kind:     global_buffer
      - .offset:         40
        .size:           4
        .value_kind:     by_value
      - .address_space:  global
        .offset:         48
        .size:           8
        .value_kind:     global_buffer
      - .offset:         56
        .size:           4
        .value_kind:     by_value
      - .offset:         60
        .size:           4
        .value_kind:     by_value
      - .offset:         64
        .size:           4
        .value_kind:     by_value
      - .offset:         68
        .size:           4
        .value_kind:     by_value
      - .offset:         72
        .size:           4
        .value_kind:     by_value
      - .offset:         76
        .size:           4
        .value_kind:     by_value
      - .offset:         80
        .size:           1
        .value_kind:     by_value
      - .offset:         81
        .size:           1
        .value_kind:     by_value
      - .offset:         88
        .size:           4
        .value_kind:     hidden_block_count_x
      - .offset:         92
        .size:           4
        .value_kind:     hidden_block_count_y
      - .offset:         96
        .size:           4
        .value_kind:     hidden_block_count_z
      - .offset:         100
        .size:           2
        .value_kind:     hidden_group_size_x
      - .offset:         102
        .size:           2
        .value_kind:     hidden_group_size_y
      - .offset:         104
        .size:           2
        .value_kind:     hidden_group_size_z
      - .offset:         106
        .size:           2
        .value_kind:     hidden_remainder_x
      - .offset:         108
        .size:           2
        .value_kind:     hidden_remainder_y
      - .offset:         110
        .size:           2
        .value_kind:     hidden_remainder_z
      - .offset:         128
        .size:           8
        .value_kind:     hidden_global_offset_x
      - .offset:         136
        .size:           8
        .value_kind:     hidden_global_offset_y
      - .offset:         144
        .size:           8
        .value_kind:     hidden_global_offset_z
      - .offset:         152
        .size:           2
        .value_kind:     hidden_grid_dims
      - .offset:         168
        .size:           8
        .value_kind:     hidden_hostcall_buffer
    .group_segment_fixed_size: 0
    .kernarg_segment_align: 8
    .kernarg_segment_size: 344
    .language:       OpenCL C
    .language_version:
      - 2
      - 0
    .max_flat_workgroup_size: 1024
    .name:           Transform_S_S_110_16_16_VW_4
    .private_segment_fixed_size: 64
    .sgpr_count:     36
    .sgpr_spill_count: 0
    .symbol:         Transform_S_S_110_16_16_VW_4.kd
    .uniform_work_group_size: 1
    .uses_dynamic_stack: false
    .vgpr_count:     42
    .vgpr_spill_count: 0
    .wavefront_size: 32
    .workgroup_processor_mode: 1
  - .args:
      - .address_space:  global
        .offset:         0
        .size:           8
        .value_kind:     global_buffer
      - .address_space:  global
        .offset:         8
        .size:           8
        .value_kind:     global_buffer
      - .address_space:  global
        .offset:         16
        .size:           8
        .value_kind:     global_buffer
      - .offset:         24
        .size:           4
        .value_kind:     by_value
      - .address_space:  global
        .offset:         32
        .size:           8
        .value_kind:     global_buffer
      - .offset:         40
        .size:           4
        .value_kind:     by_value
      - .address_space:  global
        .offset:         48
        .size:           8
        .value_kind:     global_buffer
      - .offset:         56
        .size:           4
        .value_kind:     by_value
      - .offset:         60
        .size:           4
        .value_kind:     by_value
      - .offset:         64
        .size:           4
        .value_kind:     by_value
      - .offset:         68
        .size:           4
        .value_kind:     by_value
      - .offset:         72
        .size:           4
        .value_kind:     by_value
      - .offset:         76
        .size:           4
        .value_kind:     by_value
      - .offset:         80
        .size:           1
        .value_kind:     by_value
      - .offset:         81
        .size:           1
        .value_kind:     by_value
      - .offset:         88
        .size:           4
        .value_kind:     hidden_block_count_x
      - .offset:         92
        .size:           4
        .value_kind:     hidden_block_count_y
      - .offset:         96
        .size:           4
        .value_kind:     hidden_block_count_z
      - .offset:         100
        .size:           2
        .value_kind:     hidden_group_size_x
      - .offset:         102
        .size:           2
        .value_kind:     hidden_group_size_y
      - .offset:         104
        .size:           2
        .value_kind:     hidden_group_size_z
      - .offset:         106
        .size:           2
        .value_kind:     hidden_remainder_x
      - .offset:         108
        .size:           2
        .value_kind:     hidden_remainder_y
      - .offset:         110
        .size:           2
        .value_kind:     hidden_remainder_z
      - .offset:         128
        .size:           8
        .value_kind:     hidden_global_offset_x
      - .offset:         136
        .size:           8
        .value_kind:     hidden_global_offset_y
      - .offset:         144
        .size:           8
        .value_kind:     hidden_global_offset_z
      - .offset:         152
        .size:           2
        .value_kind:     hidden_grid_dims
      - .offset:         168
        .size:           8
        .value_kind:     hidden_hostcall_buffer
    .group_segment_fixed_size: 0
    .kernarg_segment_align: 8
    .kernarg_segment_size: 344
    .language:       OpenCL C
    .language_version:
      - 2
      - 0
    .max_flat_workgroup_size: 1024
    .name:           Transform_S_S_101_16_16_VW_1
    .private_segment_fixed_size: 64
    .sgpr_count:     36
    .sgpr_spill_count: 0
    .symbol:         Transform_S_S_101_16_16_VW_1.kd
    .uniform_work_group_size: 1
    .uses_dynamic_stack: false
    .vgpr_count:     42
    .vgpr_spill_count: 0
    .wavefront_size: 32
    .workgroup_processor_mode: 1
  - .args:
      - .address_space:  global
        .offset:         0
        .size:           8
        .value_kind:     global_buffer
      - .address_space:  global
        .offset:         8
        .size:           8
        .value_kind:     global_buffer
      - .address_space:  global
        .offset:         16
        .size:           8
        .value_kind:     global_buffer
      - .offset:         24
        .size:           4
        .value_kind:     by_value
      - .address_space:  global
        .offset:         32
        .size:           8
        .value_kind:     global_buffer
      - .offset:         40
        .size:           4
        .value_kind:     by_value
      - .address_space:  global
        .offset:         48
        .size:           8
        .value_kind:     global_buffer
      - .offset:         56
        .size:           4
        .value_kind:     by_value
      - .offset:         60
        .size:           4
        .value_kind:     by_value
      - .offset:         64
        .size:           4
        .value_kind:     by_value
      - .offset:         68
        .size:           4
        .value_kind:     by_value
      - .offset:         72
        .size:           4
        .value_kind:     by_value
      - .offset:         76
        .size:           4
        .value_kind:     by_value
      - .offset:         80
        .size:           1
        .value_kind:     by_value
      - .offset:         81
        .size:           1
        .value_kind:     by_value
      - .offset:         88
        .size:           4
        .value_kind:     hidden_block_count_x
      - .offset:         92
        .size:           4
        .value_kind:     hidden_block_count_y
      - .offset:         96
        .size:           4
        .value_kind:     hidden_block_count_z
      - .offset:         100
        .size:           2
        .value_kind:     hidden_group_size_x
      - .offset:         102
        .size:           2
        .value_kind:     hidden_group_size_y
      - .offset:         104
        .size:           2
        .value_kind:     hidden_group_size_z
      - .offset:         106
        .size:           2
        .value_kind:     hidden_remainder_x
      - .offset:         108
        .size:           2
        .value_kind:     hidden_remainder_y
      - .offset:         110
        .size:           2
        .value_kind:     hidden_remainder_z
      - .offset:         128
        .size:           8
        .value_kind:     hidden_global_offset_x
      - .offset:         136
        .size:           8
        .value_kind:     hidden_global_offset_y
      - .offset:         144
        .size:           8
        .value_kind:     hidden_global_offset_z
      - .offset:         152
        .size:           2
        .value_kind:     hidden_grid_dims
      - .offset:         168
        .size:           8
        .value_kind:     hidden_hostcall_buffer
    .group_segment_fixed_size: 0
    .kernarg_segment_align: 8
    .kernarg_segment_size: 344
    .language:       OpenCL C
    .language_version:
      - 2
      - 0
    .max_flat_workgroup_size: 1024
    .name:           Transform_S_S_101_16_16_VW_4
    .private_segment_fixed_size: 64
    .sgpr_count:     36
    .sgpr_spill_count: 0
    .symbol:         Transform_S_S_101_16_16_VW_4.kd
    .uniform_work_group_size: 1
    .uses_dynamic_stack: false
    .vgpr_count:     42
    .vgpr_spill_count: 0
    .wavefront_size: 32
    .workgroup_processor_mode: 1
  - .args:
      - .address_space:  global
        .offset:         0
        .size:           8
        .value_kind:     global_buffer
      - .address_space:  global
        .offset:         8
        .size:           8
        .value_kind:     global_buffer
      - .address_space:  global
        .offset:         16
        .size:           8
        .value_kind:     global_buffer
      - .offset:         24
        .size:           4
        .value_kind:     by_value
      - .address_space:  global
        .offset:         32
        .size:           8
        .value_kind:     global_buffer
      - .offset:         40
        .size:           4
        .value_kind:     by_value
      - .address_space:  global
        .offset:         48
        .size:           8
        .value_kind:     global_buffer
      - .offset:         56
        .size:           4
        .value_kind:     by_value
      - .offset:         60
        .size:           4
        .value_kind:     by_value
      - .offset:         64
        .size:           4
        .value_kind:     by_value
      - .offset:         68
        .size:           4
        .value_kind:     by_value
      - .offset:         72
        .size:           4
        .value_kind:     by_value
      - .offset:         76
        .size:           4
        .value_kind:     by_value
      - .offset:         80
        .size:           1
        .value_kind:     by_value
      - .offset:         81
        .size:           1
        .value_kind:     by_value
      - .offset:         88
        .size:           4
        .value_kind:     hidden_block_count_x
      - .offset:         92
        .size:           4
        .value_kind:     hidden_block_count_y
      - .offset:         96
        .size:           4
        .value_kind:     hidden_block_count_z
      - .offset:         100
        .size:           2
        .value_kind:     hidden_group_size_x
      - .offset:         102
        .size:           2
        .value_kind:     hidden_group_size_y
      - .offset:         104
        .size:           2
        .value_kind:     hidden_group_size_z
      - .offset:         106
        .size:           2
        .value_kind:     hidden_remainder_x
      - .offset:         108
        .size:           2
        .value_kind:     hidden_remainder_y
      - .offset:         110
        .size:           2
        .value_kind:     hidden_remainder_z
      - .offset:         128
        .size:           8
        .value_kind:     hidden_global_offset_x
      - .offset:         136
        .size:           8
        .value_kind:     hidden_global_offset_y
      - .offset:         144
        .size:           8
        .value_kind:     hidden_global_offset_z
      - .offset:         152
        .size:           2
        .value_kind:     hidden_grid_dims
      - .offset:         168
        .size:           8
        .value_kind:     hidden_hostcall_buffer
    .group_segment_fixed_size: 0
    .kernarg_segment_align: 8
    .kernarg_segment_size: 344
    .language:       OpenCL C
    .language_version:
      - 2
      - 0
    .max_flat_workgroup_size: 1024
    .name:           Transform_S_S_100_16_16_VW_1
    .private_segment_fixed_size: 64
    .sgpr_count:     36
    .sgpr_spill_count: 0
    .symbol:         Transform_S_S_100_16_16_VW_1.kd
    .uniform_work_group_size: 1
    .uses_dynamic_stack: false
    .vgpr_count:     42
    .vgpr_spill_count: 0
    .wavefront_size: 32
    .workgroup_processor_mode: 1
  - .args:
      - .address_space:  global
        .offset:         0
        .size:           8
        .value_kind:     global_buffer
      - .address_space:  global
        .offset:         8
        .size:           8
        .value_kind:     global_buffer
      - .address_space:  global
        .offset:         16
        .size:           8
        .value_kind:     global_buffer
      - .offset:         24
        .size:           4
        .value_kind:     by_value
      - .address_space:  global
        .offset:         32
        .size:           8
        .value_kind:     global_buffer
      - .offset:         40
        .size:           4
        .value_kind:     by_value
      - .address_space:  global
        .offset:         48
        .size:           8
        .value_kind:     global_buffer
      - .offset:         56
        .size:           4
        .value_kind:     by_value
      - .offset:         60
        .size:           4
        .value_kind:     by_value
      - .offset:         64
        .size:           4
        .value_kind:     by_value
      - .offset:         68
        .size:           4
        .value_kind:     by_value
      - .offset:         72
        .size:           4
        .value_kind:     by_value
      - .offset:         76
        .size:           4
        .value_kind:     by_value
      - .offset:         80
        .size:           1
        .value_kind:     by_value
      - .offset:         81
        .size:           1
        .value_kind:     by_value
      - .offset:         88
        .size:           4
        .value_kind:     hidden_block_count_x
      - .offset:         92
        .size:           4
        .value_kind:     hidden_block_count_y
      - .offset:         96
        .size:           4
        .value_kind:     hidden_block_count_z
      - .offset:         100
        .size:           2
        .value_kind:     hidden_group_size_x
      - .offset:         102
        .size:           2
        .value_kind:     hidden_group_size_y
      - .offset:         104
        .size:           2
        .value_kind:     hidden_group_size_z
      - .offset:         106
        .size:           2
        .value_kind:     hidden_remainder_x
      - .offset:         108
        .size:           2
        .value_kind:     hidden_remainder_y
      - .offset:         110
        .size:           2
        .value_kind:     hidden_remainder_z
      - .offset:         128
        .size:           8
        .value_kind:     hidden_global_offset_x
      - .offset:         136
        .size:           8
        .value_kind:     hidden_global_offset_y
      - .offset:         144
        .size:           8
        .value_kind:     hidden_global_offset_z
      - .offset:         152
        .size:           2
        .value_kind:     hidden_grid_dims
      - .offset:         168
        .size:           8
        .value_kind:     hidden_hostcall_buffer
    .group_segment_fixed_size: 0
    .kernarg_segment_align: 8
    .kernarg_segment_size: 344
    .language:       OpenCL C
    .language_version:
      - 2
      - 0
    .max_flat_workgroup_size: 1024
    .name:           Transform_S_S_100_16_16_VW_4
    .private_segment_fixed_size: 64
    .sgpr_count:     36
    .sgpr_spill_count: 0
    .symbol:         Transform_S_S_100_16_16_VW_4.kd
    .uniform_work_group_size: 1
    .uses_dynamic_stack: false
    .vgpr_count:     42
    .vgpr_spill_count: 0
    .wavefront_size: 32
    .workgroup_processor_mode: 1
  - .args:
      - .address_space:  global
        .offset:         0
        .size:           8
        .value_kind:     global_buffer
      - .address_space:  global
        .offset:         8
        .size:           8
        .value_kind:     global_buffer
      - .address_space:  global
        .offset:         16
        .size:           8
        .value_kind:     global_buffer
      - .offset:         24
        .size:           4
        .value_kind:     by_value
      - .address_space:  global
        .offset:         32
        .size:           8
        .value_kind:     global_buffer
      - .offset:         40
        .size:           4
        .value_kind:     by_value
      - .address_space:  global
        .offset:         48
        .size:           8
        .value_kind:     global_buffer
      - .offset:         56
        .size:           4
        .value_kind:     by_value
      - .offset:         60
        .size:           4
        .value_kind:     by_value
      - .offset:         64
        .size:           4
        .value_kind:     by_value
      - .offset:         68
        .size:           4
        .value_kind:     by_value
      - .offset:         72
        .size:           4
        .value_kind:     by_value
      - .offset:         76
        .size:           4
        .value_kind:     by_value
      - .offset:         80
        .size:           1
        .value_kind:     by_value
      - .offset:         81
        .size:           1
        .value_kind:     by_value
      - .offset:         88
        .size:           4
        .value_kind:     hidden_block_count_x
      - .offset:         92
        .size:           4
        .value_kind:     hidden_block_count_y
      - .offset:         96
        .size:           4
        .value_kind:     hidden_block_count_z
      - .offset:         100
        .size:           2
        .value_kind:     hidden_group_size_x
      - .offset:         102
        .size:           2
        .value_kind:     hidden_group_size_y
      - .offset:         104
        .size:           2
        .value_kind:     hidden_group_size_z
      - .offset:         106
        .size:           2
        .value_kind:     hidden_remainder_x
      - .offset:         108
        .size:           2
        .value_kind:     hidden_remainder_y
      - .offset:         110
        .size:           2
        .value_kind:     hidden_remainder_z
      - .offset:         128
        .size:           8
        .value_kind:     hidden_global_offset_x
      - .offset:         136
        .size:           8
        .value_kind:     hidden_global_offset_y
      - .offset:         144
        .size:           8
        .value_kind:     hidden_global_offset_z
      - .offset:         152
        .size:           2
        .value_kind:     hidden_grid_dims
      - .offset:         168
        .size:           8
        .value_kind:     hidden_hostcall_buffer
    .group_segment_fixed_size: 0
    .kernarg_segment_align: 8
    .kernarg_segment_size: 344
    .language:       OpenCL C
    .language_version:
      - 2
      - 0
    .max_flat_workgroup_size: 1024
    .name:           Transform_S_S_011_16_16_VW_1
    .private_segment_fixed_size: 64
    .sgpr_count:     36
    .sgpr_spill_count: 0
    .symbol:         Transform_S_S_011_16_16_VW_1.kd
    .uniform_work_group_size: 1
    .uses_dynamic_stack: false
    .vgpr_count:     42
    .vgpr_spill_count: 0
    .wavefront_size: 32
    .workgroup_processor_mode: 1
  - .args:
      - .address_space:  global
        .offset:         0
        .size:           8
        .value_kind:     global_buffer
      - .address_space:  global
        .offset:         8
        .size:           8
        .value_kind:     global_buffer
      - .address_space:  global
        .offset:         16
        .size:           8
        .value_kind:     global_buffer
      - .offset:         24
        .size:           4
        .value_kind:     by_value
      - .address_space:  global
        .offset:         32
        .size:           8
        .value_kind:     global_buffer
      - .offset:         40
        .size:           4
        .value_kind:     by_value
      - .address_space:  global
        .offset:         48
        .size:           8
        .value_kind:     global_buffer
      - .offset:         56
        .size:           4
        .value_kind:     by_value
      - .offset:         60
        .size:           4
        .value_kind:     by_value
      - .offset:         64
        .size:           4
        .value_kind:     by_value
      - .offset:         68
        .size:           4
        .value_kind:     by_value
      - .offset:         72
        .size:           4
        .value_kind:     by_value
      - .offset:         76
        .size:           4
        .value_kind:     by_value
      - .offset:         80
        .size:           1
        .value_kind:     by_value
      - .offset:         81
        .size:           1
        .value_kind:     by_value
      - .offset:         88
        .size:           4
        .value_kind:     hidden_block_count_x
      - .offset:         92
        .size:           4
        .value_kind:     hidden_block_count_y
      - .offset:         96
        .size:           4
        .value_kind:     hidden_block_count_z
      - .offset:         100
        .size:           2
        .value_kind:     hidden_group_size_x
      - .offset:         102
        .size:           2
        .value_kind:     hidden_group_size_y
      - .offset:         104
        .size:           2
        .value_kind:     hidden_group_size_z
      - .offset:         106
        .size:           2
        .value_kind:     hidden_remainder_x
      - .offset:         108
        .size:           2
        .value_kind:     hidden_remainder_y
      - .offset:         110
        .size:           2
        .value_kind:     hidden_remainder_z
      - .offset:         128
        .size:           8
        .value_kind:     hidden_global_offset_x
      - .offset:         136
        .size:           8
        .value_kind:     hidden_global_offset_y
      - .offset:         144
        .size:           8
        .value_kind:     hidden_global_offset_z
      - .offset:         152
        .size:           2
        .value_kind:     hidden_grid_dims
      - .offset:         168
        .size:           8
        .value_kind:     hidden_hostcall_buffer
    .group_segment_fixed_size: 0
    .kernarg_segment_align: 8
    .kernarg_segment_size: 344
    .language:       OpenCL C
    .language_version:
      - 2
      - 0
    .max_flat_workgroup_size: 1024
    .name:           Transform_S_S_011_16_16_VW_4
    .private_segment_fixed_size: 64
    .sgpr_count:     36
    .sgpr_spill_count: 0
    .symbol:         Transform_S_S_011_16_16_VW_4.kd
    .uniform_work_group_size: 1
    .uses_dynamic_stack: false
    .vgpr_count:     42
    .vgpr_spill_count: 0
    .wavefront_size: 32
    .workgroup_processor_mode: 1
  - .args:
      - .address_space:  global
        .offset:         0
        .size:           8
        .value_kind:     global_buffer
      - .address_space:  global
        .offset:         8
        .size:           8
        .value_kind:     global_buffer
      - .address_space:  global
        .offset:         16
        .size:           8
        .value_kind:     global_buffer
      - .offset:         24
        .size:           4
        .value_kind:     by_value
      - .address_space:  global
        .offset:         32
        .size:           8
        .value_kind:     global_buffer
      - .offset:         40
        .size:           4
        .value_kind:     by_value
      - .address_space:  global
        .offset:         48
        .size:           8
        .value_kind:     global_buffer
      - .offset:         56
        .size:           4
        .value_kind:     by_value
      - .offset:         60
        .size:           4
        .value_kind:     by_value
      - .offset:         64
        .size:           4
        .value_kind:     by_value
      - .offset:         68
        .size:           4
        .value_kind:     by_value
      - .offset:         72
        .size:           4
        .value_kind:     by_value
      - .offset:         76
        .size:           4
        .value_kind:     by_value
      - .offset:         80
        .size:           1
        .value_kind:     by_value
      - .offset:         81
        .size:           1
        .value_kind:     by_value
      - .offset:         88
        .size:           4
        .value_kind:     hidden_block_count_x
      - .offset:         92
        .size:           4
        .value_kind:     hidden_block_count_y
      - .offset:         96
        .size:           4
        .value_kind:     hidden_block_count_z
      - .offset:         100
        .size:           2
        .value_kind:     hidden_group_size_x
      - .offset:         102
        .size:           2
        .value_kind:     hidden_group_size_y
      - .offset:         104
        .size:           2
        .value_kind:     hidden_group_size_z
      - .offset:         106
        .size:           2
        .value_kind:     hidden_remainder_x
      - .offset:         108
        .size:           2
        .value_kind:     hidden_remainder_y
      - .offset:         110
        .size:           2
        .value_kind:     hidden_remainder_z
      - .offset:         128
        .size:           8
        .value_kind:     hidden_global_offset_x
      - .offset:         136
        .size:           8
        .value_kind:     hidden_global_offset_y
      - .offset:         144
        .size:           8
        .value_kind:     hidden_global_offset_z
      - .offset:         152
        .size:           2
        .value_kind:     hidden_grid_dims
      - .offset:         168
        .size:           8
        .value_kind:     hidden_hostcall_buffer
    .group_segment_fixed_size: 0
    .kernarg_segment_align: 8
    .kernarg_segment_size: 344
    .language:       OpenCL C
    .language_version:
      - 2
      - 0
    .max_flat_workgroup_size: 1024
    .name:           Transform_S_S_010_16_16_VW_1
    .private_segment_fixed_size: 64
    .sgpr_count:     36
    .sgpr_spill_count: 0
    .symbol:         Transform_S_S_010_16_16_VW_1.kd
    .uniform_work_group_size: 1
    .uses_dynamic_stack: false
    .vgpr_count:     42
    .vgpr_spill_count: 0
    .wavefront_size: 32
    .workgroup_processor_mode: 1
  - .args:
      - .address_space:  global
        .offset:         0
        .size:           8
        .value_kind:     global_buffer
      - .address_space:  global
        .offset:         8
        .size:           8
        .value_kind:     global_buffer
      - .address_space:  global
        .offset:         16
        .size:           8
        .value_kind:     global_buffer
      - .offset:         24
        .size:           4
        .value_kind:     by_value
      - .address_space:  global
        .offset:         32
        .size:           8
        .value_kind:     global_buffer
      - .offset:         40
        .size:           4
        .value_kind:     by_value
      - .address_space:  global
        .offset:         48
        .size:           8
        .value_kind:     global_buffer
      - .offset:         56
        .size:           4
        .value_kind:     by_value
      - .offset:         60
        .size:           4
        .value_kind:     by_value
      - .offset:         64
        .size:           4
        .value_kind:     by_value
      - .offset:         68
        .size:           4
        .value_kind:     by_value
      - .offset:         72
        .size:           4
        .value_kind:     by_value
      - .offset:         76
        .size:           4
        .value_kind:     by_value
      - .offset:         80
        .size:           1
        .value_kind:     by_value
      - .offset:         81
        .size:           1
        .value_kind:     by_value
      - .offset:         88
        .size:           4
        .value_kind:     hidden_block_count_x
      - .offset:         92
        .size:           4
        .value_kind:     hidden_block_count_y
      - .offset:         96
        .size:           4
        .value_kind:     hidden_block_count_z
      - .offset:         100
        .size:           2
        .value_kind:     hidden_group_size_x
      - .offset:         102
        .size:           2
        .value_kind:     hidden_group_size_y
      - .offset:         104
        .size:           2
        .value_kind:     hidden_group_size_z
      - .offset:         106
        .size:           2
        .value_kind:     hidden_remainder_x
      - .offset:         108
        .size:           2
        .value_kind:     hidden_remainder_y
      - .offset:         110
        .size:           2
        .value_kind:     hidden_remainder_z
      - .offset:         128
        .size:           8
        .value_kind:     hidden_global_offset_x
      - .offset:         136
        .size:           8
        .value_kind:     hidden_global_offset_y
      - .offset:         144
        .size:           8
        .value_kind:     hidden_global_offset_z
      - .offset:         152
        .size:           2
        .value_kind:     hidden_grid_dims
      - .offset:         168
        .size:           8
        .value_kind:     hidden_hostcall_buffer
    .group_segment_fixed_size: 0
    .kernarg_segment_align: 8
    .kernarg_segment_size: 344
    .language:       OpenCL C
    .language_version:
      - 2
      - 0
    .max_flat_workgroup_size: 1024
    .name:           Transform_S_S_010_16_16_VW_4
    .private_segment_fixed_size: 64
    .sgpr_count:     36
    .sgpr_spill_count: 0
    .symbol:         Transform_S_S_010_16_16_VW_4.kd
    .uniform_work_group_size: 1
    .uses_dynamic_stack: false
    .vgpr_count:     42
    .vgpr_spill_count: 0
    .wavefront_size: 32
    .workgroup_processor_mode: 1
  - .args:
      - .address_space:  global
        .offset:         0
        .size:           8
        .value_kind:     global_buffer
      - .address_space:  global
        .offset:         8
        .size:           8
        .value_kind:     global_buffer
      - .address_space:  global
        .offset:         16
        .size:           8
        .value_kind:     global_buffer
      - .offset:         24
        .size:           4
        .value_kind:     by_value
      - .address_space:  global
        .offset:         32
        .size:           8
        .value_kind:     global_buffer
      - .offset:         40
        .size:           4
        .value_kind:     by_value
      - .address_space:  global
        .offset:         48
        .size:           8
        .value_kind:     global_buffer
      - .offset:         56
        .size:           4
        .value_kind:     by_value
      - .offset:         60
        .size:           4
        .value_kind:     by_value
      - .offset:         64
        .size:           4
        .value_kind:     by_value
      - .offset:         68
        .size:           4
        .value_kind:     by_value
      - .offset:         72
        .size:           4
        .value_kind:     by_value
      - .offset:         76
        .size:           4
        .value_kind:     by_value
      - .offset:         80
        .size:           1
        .value_kind:     by_value
      - .offset:         81
        .size:           1
        .value_kind:     by_value
      - .offset:         88
        .size:           4
        .value_kind:     hidden_block_count_x
      - .offset:         92
        .size:           4
        .value_kind:     hidden_block_count_y
      - .offset:         96
        .size:           4
        .value_kind:     hidden_block_count_z
      - .offset:         100
        .size:           2
        .value_kind:     hidden_group_size_x
      - .offset:         102
        .size:           2
        .value_kind:     hidden_group_size_y
      - .offset:         104
        .size:           2
        .value_kind:     hidden_group_size_z
      - .offset:         106
        .size:           2
        .value_kind:     hidden_remainder_x
      - .offset:         108
        .size:           2
        .value_kind:     hidden_remainder_y
      - .offset:         110
        .size:           2
        .value_kind:     hidden_remainder_z
      - .offset:         128
        .size:           8
        .value_kind:     hidden_global_offset_x
      - .offset:         136
        .size:           8
        .value_kind:     hidden_global_offset_y
      - .offset:         144
        .size:           8
        .value_kind:     hidden_global_offset_z
      - .offset:         152
        .size:           2
        .value_kind:     hidden_grid_dims
      - .offset:         168
        .size:           8
        .value_kind:     hidden_hostcall_buffer
    .group_segment_fixed_size: 0
    .kernarg_segment_align: 8
    .kernarg_segment_size: 344
    .language:       OpenCL C
    .language_version:
      - 2
      - 0
    .max_flat_workgroup_size: 1024
    .name:           Transform_S_S_001_16_16_VW_1
    .private_segment_fixed_size: 64
    .sgpr_count:     36
    .sgpr_spill_count: 0
    .symbol:         Transform_S_S_001_16_16_VW_1.kd
    .uniform_work_group_size: 1
    .uses_dynamic_stack: false
    .vgpr_count:     42
    .vgpr_spill_count: 0
    .wavefront_size: 32
    .workgroup_processor_mode: 1
  - .args:
      - .address_space:  global
        .offset:         0
        .size:           8
        .value_kind:     global_buffer
      - .address_space:  global
        .offset:         8
        .size:           8
        .value_kind:     global_buffer
      - .address_space:  global
        .offset:         16
        .size:           8
        .value_kind:     global_buffer
      - .offset:         24
        .size:           4
        .value_kind:     by_value
      - .address_space:  global
        .offset:         32
        .size:           8
        .value_kind:     global_buffer
      - .offset:         40
        .size:           4
        .value_kind:     by_value
      - .address_space:  global
        .offset:         48
        .size:           8
        .value_kind:     global_buffer
      - .offset:         56
        .size:           4
        .value_kind:     by_value
      - .offset:         60
        .size:           4
        .value_kind:     by_value
      - .offset:         64
        .size:           4
        .value_kind:     by_value
      - .offset:         68
        .size:           4
        .value_kind:     by_value
      - .offset:         72
        .size:           4
        .value_kind:     by_value
      - .offset:         76
        .size:           4
        .value_kind:     by_value
      - .offset:         80
        .size:           1
        .value_kind:     by_value
      - .offset:         81
        .size:           1
        .value_kind:     by_value
      - .offset:         88
        .size:           4
        .value_kind:     hidden_block_count_x
      - .offset:         92
        .size:           4
        .value_kind:     hidden_block_count_y
      - .offset:         96
        .size:           4
        .value_kind:     hidden_block_count_z
      - .offset:         100
        .size:           2
        .value_kind:     hidden_group_size_x
      - .offset:         102
        .size:           2
        .value_kind:     hidden_group_size_y
      - .offset:         104
        .size:           2
        .value_kind:     hidden_group_size_z
      - .offset:         106
        .size:           2
        .value_kind:     hidden_remainder_x
      - .offset:         108
        .size:           2
        .value_kind:     hidden_remainder_y
      - .offset:         110
        .size:           2
        .value_kind:     hidden_remainder_z
      - .offset:         128
        .size:           8
        .value_kind:     hidden_global_offset_x
      - .offset:         136
        .size:           8
        .value_kind:     hidden_global_offset_y
      - .offset:         144
        .size:           8
        .value_kind:     hidden_global_offset_z
      - .offset:         152
        .size:           2
        .value_kind:     hidden_grid_dims
      - .offset:         168
        .size:           8
        .value_kind:     hidden_hostcall_buffer
    .group_segment_fixed_size: 0
    .kernarg_segment_align: 8
    .kernarg_segment_size: 344
    .language:       OpenCL C
    .language_version:
      - 2
      - 0
    .max_flat_workgroup_size: 1024
    .name:           Transform_S_S_001_16_16_VW_4
    .private_segment_fixed_size: 64
    .sgpr_count:     36
    .sgpr_spill_count: 0
    .symbol:         Transform_S_S_001_16_16_VW_4.kd
    .uniform_work_group_size: 1
    .uses_dynamic_stack: false
    .vgpr_count:     42
    .vgpr_spill_count: 0
    .wavefront_size: 32
    .workgroup_processor_mode: 1
  - .args:
      - .address_space:  global
        .offset:         0
        .size:           8
        .value_kind:     global_buffer
      - .address_space:  global
        .offset:         8
        .size:           8
        .value_kind:     global_buffer
      - .address_space:  global
        .offset:         16
        .size:           8
        .value_kind:     global_buffer
      - .offset:         24
        .size:           4
        .value_kind:     by_value
      - .address_space:  global
        .offset:         32
        .size:           8
        .value_kind:     global_buffer
      - .offset:         40
        .size:           4
        .value_kind:     by_value
      - .address_space:  global
        .offset:         48
        .size:           8
        .value_kind:     global_buffer
      - .offset:         56
        .size:           4
        .value_kind:     by_value
      - .offset:         60
        .size:           4
        .value_kind:     by_value
      - .offset:         64
        .size:           4
        .value_kind:     by_value
      - .offset:         68
        .size:           4
        .value_kind:     by_value
      - .offset:         72
        .size:           4
        .value_kind:     by_value
      - .offset:         76
        .size:           4
        .value_kind:     by_value
      - .offset:         80
        .size:           1
        .value_kind:     by_value
      - .offset:         81
        .size:           1
        .value_kind:     by_value
      - .offset:         88
        .size:           4
        .value_kind:     hidden_block_count_x
      - .offset:         92
        .size:           4
        .value_kind:     hidden_block_count_y
      - .offset:         96
        .size:           4
        .value_kind:     hidden_block_count_z
      - .offset:         100
        .size:           2
        .value_kind:     hidden_group_size_x
      - .offset:         102
        .size:           2
        .value_kind:     hidden_group_size_y
      - .offset:         104
        .size:           2
        .value_kind:     hidden_group_size_z
      - .offset:         106
        .size:           2
        .value_kind:     hidden_remainder_x
      - .offset:         108
        .size:           2
        .value_kind:     hidden_remainder_y
      - .offset:         110
        .size:           2
        .value_kind:     hidden_remainder_z
      - .offset:         128
        .size:           8
        .value_kind:     hidden_global_offset_x
      - .offset:         136
        .size:           8
        .value_kind:     hidden_global_offset_y
      - .offset:         144
        .size:           8
        .value_kind:     hidden_global_offset_z
      - .offset:         152
        .size:           2
        .value_kind:     hidden_grid_dims
      - .offset:         168
        .size:           8
        .value_kind:     hidden_hostcall_buffer
    .group_segment_fixed_size: 0
    .kernarg_segment_align: 8
    .kernarg_segment_size: 344
    .language:       OpenCL C
    .language_version:
      - 2
      - 0
    .max_flat_workgroup_size: 1024
    .name:           Transform_S_S_000_16_16_VW_1
    .private_segment_fixed_size: 64
    .sgpr_count:     36
    .sgpr_spill_count: 0
    .symbol:         Transform_S_S_000_16_16_VW_1.kd
    .uniform_work_group_size: 1
    .uses_dynamic_stack: false
    .vgpr_count:     42
    .vgpr_spill_count: 0
    .wavefront_size: 32
    .workgroup_processor_mode: 1
  - .args:
      - .address_space:  global
        .offset:         0
        .size:           8
        .value_kind:     global_buffer
      - .address_space:  global
        .offset:         8
        .size:           8
        .value_kind:     global_buffer
      - .address_space:  global
        .offset:         16
        .size:           8
        .value_kind:     global_buffer
      - .offset:         24
        .size:           4
        .value_kind:     by_value
      - .address_space:  global
        .offset:         32
        .size:           8
        .value_kind:     global_buffer
      - .offset:         40
        .size:           4
        .value_kind:     by_value
      - .address_space:  global
        .offset:         48
        .size:           8
        .value_kind:     global_buffer
      - .offset:         56
        .size:           4
        .value_kind:     by_value
      - .offset:         60
        .size:           4
        .value_kind:     by_value
      - .offset:         64
        .size:           4
        .value_kind:     by_value
      - .offset:         68
        .size:           4
        .value_kind:     by_value
      - .offset:         72
        .size:           4
        .value_kind:     by_value
      - .offset:         76
        .size:           4
        .value_kind:     by_value
      - .offset:         80
        .size:           1
        .value_kind:     by_value
      - .offset:         81
        .size:           1
        .value_kind:     by_value
      - .offset:         88
        .size:           4
        .value_kind:     hidden_block_count_x
      - .offset:         92
        .size:           4
        .value_kind:     hidden_block_count_y
      - .offset:         96
        .size:           4
        .value_kind:     hidden_block_count_z
      - .offset:         100
        .size:           2
        .value_kind:     hidden_group_size_x
      - .offset:         102
        .size:           2
        .value_kind:     hidden_group_size_y
      - .offset:         104
        .size:           2
        .value_kind:     hidden_group_size_z
      - .offset:         106
        .size:           2
        .value_kind:     hidden_remainder_x
      - .offset:         108
        .size:           2
        .value_kind:     hidden_remainder_y
      - .offset:         110
        .size:           2
        .value_kind:     hidden_remainder_z
      - .offset:         128
        .size:           8
        .value_kind:     hidden_global_offset_x
      - .offset:         136
        .size:           8
        .value_kind:     hidden_global_offset_y
      - .offset:         144
        .size:           8
        .value_kind:     hidden_global_offset_z
      - .offset:         152
        .size:           2
        .value_kind:     hidden_grid_dims
      - .offset:         168
        .size:           8
        .value_kind:     hidden_hostcall_buffer
    .group_segment_fixed_size: 0
    .kernarg_segment_align: 8
    .kernarg_segment_size: 344
    .language:       OpenCL C
    .language_version:
      - 2
      - 0
    .max_flat_workgroup_size: 1024
    .name:           Transform_S_S_000_16_16_VW_4
    .private_segment_fixed_size: 64
    .sgpr_count:     36
    .sgpr_spill_count: 0
    .symbol:         Transform_S_S_000_16_16_VW_4.kd
    .uniform_work_group_size: 1
    .uses_dynamic_stack: false
    .vgpr_count:     42
    .vgpr_spill_count: 0
    .wavefront_size: 32
    .workgroup_processor_mode: 1
  - .args:
      - .address_space:  global
        .offset:         0
        .size:           8
        .value_kind:     global_buffer
      - .address_space:  global
        .offset:         8
        .size:           8
        .value_kind:     global_buffer
      - .address_space:  global
        .offset:         16
        .size:           8
        .value_kind:     global_buffer
      - .offset:         24
        .size:           2
        .value_kind:     by_value
      - .address_space:  global
        .offset:         32
        .size:           8
        .value_kind:     global_buffer
      - .offset:         40
        .size:           2
        .value_kind:     by_value
      - .address_space:  global
        .offset:         48
        .size:           8
        .value_kind:     global_buffer
      - .offset:         56
        .size:           4
        .value_kind:     by_value
      - .offset:         60
        .size:           4
        .value_kind:     by_value
      - .offset:         64
        .size:           4
        .value_kind:     by_value
      - .offset:         68
        .size:           4
        .value_kind:     by_value
      - .offset:         72
        .size:           4
        .value_kind:     by_value
      - .offset:         76
        .size:           4
        .value_kind:     by_value
      - .offset:         80
        .size:           1
        .value_kind:     by_value
      - .offset:         81
        .size:           1
        .value_kind:     by_value
      - .offset:         88
        .size:           4
        .value_kind:     hidden_block_count_x
      - .offset:         92
        .size:           4
        .value_kind:     hidden_block_count_y
      - .offset:         96
        .size:           4
        .value_kind:     hidden_block_count_z
      - .offset:         100
        .size:           2
        .value_kind:     hidden_group_size_x
      - .offset:         102
        .size:           2
        .value_kind:     hidden_group_size_y
      - .offset:         104
        .size:           2
        .value_kind:     hidden_group_size_z
      - .offset:         106
        .size:           2
        .value_kind:     hidden_remainder_x
      - .offset:         108
        .size:           2
        .value_kind:     hidden_remainder_y
      - .offset:         110
        .size:           2
        .value_kind:     hidden_remainder_z
      - .offset:         128
        .size:           8
        .value_kind:     hidden_global_offset_x
      - .offset:         136
        .size:           8
        .value_kind:     hidden_global_offset_y
      - .offset:         144
        .size:           8
        .value_kind:     hidden_global_offset_z
      - .offset:         152
        .size:           2
        .value_kind:     hidden_grid_dims
      - .offset:         168
        .size:           8
        .value_kind:     hidden_hostcall_buffer
    .group_segment_fixed_size: 0
    .kernarg_segment_align: 8
    .kernarg_segment_size: 344
    .language:       OpenCL C
    .language_version:
      - 2
      - 0
    .max_flat_workgroup_size: 1024
    .name:           Transform_H_H_111_16_16_VW_1
    .private_segment_fixed_size: 64
    .sgpr_count:     36
    .sgpr_spill_count: 0
    .symbol:         Transform_H_H_111_16_16_VW_1.kd
    .uniform_work_group_size: 1
    .uses_dynamic_stack: false
    .vgpr_count:     42
    .vgpr_spill_count: 0
    .wavefront_size: 32
    .workgroup_processor_mode: 1
  - .args:
      - .address_space:  global
        .offset:         0
        .size:           8
        .value_kind:     global_buffer
      - .address_space:  global
        .offset:         8
        .size:           8
        .value_kind:     global_buffer
      - .address_space:  global
        .offset:         16
        .size:           8
        .value_kind:     global_buffer
      - .offset:         24
        .size:           2
        .value_kind:     by_value
      - .address_space:  global
        .offset:         32
        .size:           8
        .value_kind:     global_buffer
      - .offset:         40
        .size:           2
        .value_kind:     by_value
      - .address_space:  global
        .offset:         48
        .size:           8
        .value_kind:     global_buffer
      - .offset:         56
        .size:           4
        .value_kind:     by_value
      - .offset:         60
        .size:           4
        .value_kind:     by_value
      - .offset:         64
        .size:           4
        .value_kind:     by_value
      - .offset:         68
        .size:           4
        .value_kind:     by_value
      - .offset:         72
        .size:           4
        .value_kind:     by_value
      - .offset:         76
        .size:           4
        .value_kind:     by_value
      - .offset:         80
        .size:           1
        .value_kind:     by_value
      - .offset:         81
        .size:           1
        .value_kind:     by_value
      - .offset:         88
        .size:           4
        .value_kind:     hidden_block_count_x
      - .offset:         92
        .size:           4
        .value_kind:     hidden_block_count_y
      - .offset:         96
        .size:           4
        .value_kind:     hidden_block_count_z
      - .offset:         100
        .size:           2
        .value_kind:     hidden_group_size_x
      - .offset:         102
        .size:           2
        .value_kind:     hidden_group_size_y
      - .offset:         104
        .size:           2
        .value_kind:     hidden_group_size_z
      - .offset:         106
        .size:           2
        .value_kind:     hidden_remainder_x
      - .offset:         108
        .size:           2
        .value_kind:     hidden_remainder_y
      - .offset:         110
        .size:           2
        .value_kind:     hidden_remainder_z
      - .offset:         128
        .size:           8
        .value_kind:     hidden_global_offset_x
      - .offset:         136
        .size:           8
        .value_kind:     hidden_global_offset_y
      - .offset:         144
        .size:           8
        .value_kind:     hidden_global_offset_z
      - .offset:         152
        .size:           2
        .value_kind:     hidden_grid_dims
      - .offset:         168
        .size:           8
        .value_kind:     hidden_hostcall_buffer
    .group_segment_fixed_size: 0
    .kernarg_segment_align: 8
    .kernarg_segment_size: 344
    .language:       OpenCL C
    .language_version:
      - 2
      - 0
    .max_flat_workgroup_size: 1024
    .name:           Transform_H_H_111_16_16_VW_4
    .private_segment_fixed_size: 64
    .sgpr_count:     36
    .sgpr_spill_count: 0
    .symbol:         Transform_H_H_111_16_16_VW_4.kd
    .uniform_work_group_size: 1
    .uses_dynamic_stack: false
    .vgpr_count:     42
    .vgpr_spill_count: 0
    .wavefront_size: 32
    .workgroup_processor_mode: 1
  - .args:
      - .address_space:  global
        .offset:         0
        .size:           8
        .value_kind:     global_buffer
      - .address_space:  global
        .offset:         8
        .size:           8
        .value_kind:     global_buffer
      - .address_space:  global
        .offset:         16
        .size:           8
        .value_kind:     global_buffer
      - .offset:         24
        .size:           2
        .value_kind:     by_value
      - .address_space:  global
        .offset:         32
        .size:           8
        .value_kind:     global_buffer
      - .offset:         40
        .size:           2
        .value_kind:     by_value
      - .address_space:  global
        .offset:         48
        .size:           8
        .value_kind:     global_buffer
      - .offset:         56
        .size:           4
        .value_kind:     by_value
      - .offset:         60
        .size:           4
        .value_kind:     by_value
      - .offset:         64
        .size:           4
        .value_kind:     by_value
      - .offset:         68
        .size:           4
        .value_kind:     by_value
      - .offset:         72
        .size:           4
        .value_kind:     by_value
      - .offset:         76
        .size:           4
        .value_kind:     by_value
      - .offset:         80
        .size:           1
        .value_kind:     by_value
      - .offset:         81
        .size:           1
        .value_kind:     by_value
      - .offset:         88
        .size:           4
        .value_kind:     hidden_block_count_x
      - .offset:         92
        .size:           4
        .value_kind:     hidden_block_count_y
      - .offset:         96
        .size:           4
        .value_kind:     hidden_block_count_z
      - .offset:         100
        .size:           2
        .value_kind:     hidden_group_size_x
      - .offset:         102
        .size:           2
        .value_kind:     hidden_group_size_y
      - .offset:         104
        .size:           2
        .value_kind:     hidden_group_size_z
      - .offset:         106
        .size:           2
        .value_kind:     hidden_remainder_x
      - .offset:         108
        .size:           2
        .value_kind:     hidden_remainder_y
      - .offset:         110
        .size:           2
        .value_kind:     hidden_remainder_z
      - .offset:         128
        .size:           8
        .value_kind:     hidden_global_offset_x
      - .offset:         136
        .size:           8
        .value_kind:     hidden_global_offset_y
      - .offset:         144
        .size:           8
        .value_kind:     hidden_global_offset_z
      - .offset:         152
        .size:           2
        .value_kind:     hidden_grid_dims
      - .offset:         168
        .size:           8
        .value_kind:     hidden_hostcall_buffer
    .group_segment_fixed_size: 0
    .kernarg_segment_align: 8
    .kernarg_segment_size: 344
    .language:       OpenCL C
    .language_version:
      - 2
      - 0
    .max_flat_workgroup_size: 1024
    .name:           Transform_H_H_110_16_16_VW_1
    .private_segment_fixed_size: 64
    .sgpr_count:     36
    .sgpr_spill_count: 0
    .symbol:         Transform_H_H_110_16_16_VW_1.kd
    .uniform_work_group_size: 1
    .uses_dynamic_stack: false
    .vgpr_count:     42
    .vgpr_spill_count: 0
    .wavefront_size: 32
    .workgroup_processor_mode: 1
  - .args:
      - .address_space:  global
        .offset:         0
        .size:           8
        .value_kind:     global_buffer
      - .address_space:  global
        .offset:         8
        .size:           8
        .value_kind:     global_buffer
      - .address_space:  global
        .offset:         16
        .size:           8
        .value_kind:     global_buffer
      - .offset:         24
        .size:           2
        .value_kind:     by_value
      - .address_space:  global
        .offset:         32
        .size:           8
        .value_kind:     global_buffer
      - .offset:         40
        .size:           2
        .value_kind:     by_value
      - .address_space:  global
        .offset:         48
        .size:           8
        .value_kind:     global_buffer
      - .offset:         56
        .size:           4
        .value_kind:     by_value
      - .offset:         60
        .size:           4
        .value_kind:     by_value
      - .offset:         64
        .size:           4
        .value_kind:     by_value
      - .offset:         68
        .size:           4
        .value_kind:     by_value
      - .offset:         72
        .size:           4
        .value_kind:     by_value
      - .offset:         76
        .size:           4
        .value_kind:     by_value
      - .offset:         80
        .size:           1
        .value_kind:     by_value
      - .offset:         81
        .size:           1
        .value_kind:     by_value
      - .offset:         88
        .size:           4
        .value_kind:     hidden_block_count_x
      - .offset:         92
        .size:           4
        .value_kind:     hidden_block_count_y
      - .offset:         96
        .size:           4
        .value_kind:     hidden_block_count_z
      - .offset:         100
        .size:           2
        .value_kind:     hidden_group_size_x
      - .offset:         102
        .size:           2
        .value_kind:     hidden_group_size_y
      - .offset:         104
        .size:           2
        .value_kind:     hidden_group_size_z
      - .offset:         106
        .size:           2
        .value_kind:     hidden_remainder_x
      - .offset:         108
        .size:           2
        .value_kind:     hidden_remainder_y
      - .offset:         110
        .size:           2
        .value_kind:     hidden_remainder_z
      - .offset:         128
        .size:           8
        .value_kind:     hidden_global_offset_x
      - .offset:         136
        .size:           8
        .value_kind:     hidden_global_offset_y
      - .offset:         144
        .size:           8
        .value_kind:     hidden_global_offset_z
      - .offset:         152
        .size:           2
        .value_kind:     hidden_grid_dims
      - .offset:         168
        .size:           8
        .value_kind:     hidden_hostcall_buffer
    .group_segment_fixed_size: 0
    .kernarg_segment_align: 8
    .kernarg_segment_size: 344
    .language:       OpenCL C
    .language_version:
      - 2
      - 0
    .max_flat_workgroup_size: 1024
    .name:           Transform_H_H_110_16_16_VW_4
    .private_segment_fixed_size: 64
    .sgpr_count:     36
    .sgpr_spill_count: 0
    .symbol:         Transform_H_H_110_16_16_VW_4.kd
    .uniform_work_group_size: 1
    .uses_dynamic_stack: false
    .vgpr_count:     42
    .vgpr_spill_count: 0
    .wavefront_size: 32
    .workgroup_processor_mode: 1
  - .args:
      - .address_space:  global
        .offset:         0
        .size:           8
        .value_kind:     global_buffer
      - .address_space:  global
        .offset:         8
        .size:           8
        .value_kind:     global_buffer
      - .address_space:  global
        .offset:         16
        .size:           8
        .value_kind:     global_buffer
      - .offset:         24
        .size:           2
        .value_kind:     by_value
      - .address_space:  global
        .offset:         32
        .size:           8
        .value_kind:     global_buffer
      - .offset:         40
        .size:           2
        .value_kind:     by_value
      - .address_space:  global
        .offset:         48
        .size:           8
        .value_kind:     global_buffer
      - .offset:         56
        .size:           4
        .value_kind:     by_value
      - .offset:         60
        .size:           4
        .value_kind:     by_value
      - .offset:         64
        .size:           4
        .value_kind:     by_value
      - .offset:         68
        .size:           4
        .value_kind:     by_value
      - .offset:         72
        .size:           4
        .value_kind:     by_value
      - .offset:         76
        .size:           4
        .value_kind:     by_value
      - .offset:         80
        .size:           1
        .value_kind:     by_value
      - .offset:         81
        .size:           1
        .value_kind:     by_value
      - .offset:         88
        .size:           4
        .value_kind:     hidden_block_count_x
      - .offset:         92
        .size:           4
        .value_kind:     hidden_block_count_y
      - .offset:         96
        .size:           4
        .value_kind:     hidden_block_count_z
      - .offset:         100
        .size:           2
        .value_kind:     hidden_group_size_x
      - .offset:         102
        .size:           2
        .value_kind:     hidden_group_size_y
      - .offset:         104
        .size:           2
        .value_kind:     hidden_group_size_z
      - .offset:         106
        .size:           2
        .value_kind:     hidden_remainder_x
      - .offset:         108
        .size:           2
        .value_kind:     hidden_remainder_y
      - .offset:         110
        .size:           2
        .value_kind:     hidden_remainder_z
      - .offset:         128
        .size:           8
        .value_kind:     hidden_global_offset_x
      - .offset:         136
        .size:           8
        .value_kind:     hidden_global_offset_y
      - .offset:         144
        .size:           8
        .value_kind:     hidden_global_offset_z
      - .offset:         152
        .size:           2
        .value_kind:     hidden_grid_dims
      - .offset:         168
        .size:           8
        .value_kind:     hidden_hostcall_buffer
    .group_segment_fixed_size: 0
    .kernarg_segment_align: 8
    .kernarg_segment_size: 344
    .language:       OpenCL C
    .language_version:
      - 2
      - 0
    .max_flat_workgroup_size: 1024
    .name:           Transform_H_H_101_16_16_VW_1
    .private_segment_fixed_size: 64
    .sgpr_count:     36
    .sgpr_spill_count: 0
    .symbol:         Transform_H_H_101_16_16_VW_1.kd
    .uniform_work_group_size: 1
    .uses_dynamic_stack: false
    .vgpr_count:     42
    .vgpr_spill_count: 0
    .wavefront_size: 32
    .workgroup_processor_mode: 1
  - .args:
      - .address_space:  global
        .offset:         0
        .size:           8
        .value_kind:     global_buffer
      - .address_space:  global
        .offset:         8
        .size:           8
        .value_kind:     global_buffer
      - .address_space:  global
        .offset:         16
        .size:           8
        .value_kind:     global_buffer
      - .offset:         24
        .size:           2
        .value_kind:     by_value
      - .address_space:  global
        .offset:         32
        .size:           8
        .value_kind:     global_buffer
      - .offset:         40
        .size:           2
        .value_kind:     by_value
      - .address_space:  global
        .offset:         48
        .size:           8
        .value_kind:     global_buffer
      - .offset:         56
        .size:           4
        .value_kind:     by_value
      - .offset:         60
        .size:           4
        .value_kind:     by_value
      - .offset:         64
        .size:           4
        .value_kind:     by_value
      - .offset:         68
        .size:           4
        .value_kind:     by_value
      - .offset:         72
        .size:           4
        .value_kind:     by_value
      - .offset:         76
        .size:           4
        .value_kind:     by_value
      - .offset:         80
        .size:           1
        .value_kind:     by_value
      - .offset:         81
        .size:           1
        .value_kind:     by_value
      - .offset:         88
        .size:           4
        .value_kind:     hidden_block_count_x
      - .offset:         92
        .size:           4
        .value_kind:     hidden_block_count_y
      - .offset:         96
        .size:           4
        .value_kind:     hidden_block_count_z
      - .offset:         100
        .size:           2
        .value_kind:     hidden_group_size_x
      - .offset:         102
        .size:           2
        .value_kind:     hidden_group_size_y
      - .offset:         104
        .size:           2
        .value_kind:     hidden_group_size_z
      - .offset:         106
        .size:           2
        .value_kind:     hidden_remainder_x
      - .offset:         108
        .size:           2
        .value_kind:     hidden_remainder_y
      - .offset:         110
        .size:           2
        .value_kind:     hidden_remainder_z
      - .offset:         128
        .size:           8
        .value_kind:     hidden_global_offset_x
      - .offset:         136
        .size:           8
        .value_kind:     hidden_global_offset_y
      - .offset:         144
        .size:           8
        .value_kind:     hidden_global_offset_z
      - .offset:         152
        .size:           2
        .value_kind:     hidden_grid_dims
      - .offset:         168
        .size:           8
        .value_kind:     hidden_hostcall_buffer
    .group_segment_fixed_size: 0
    .kernarg_segment_align: 8
    .kernarg_segment_size: 344
    .language:       OpenCL C
    .language_version:
      - 2
      - 0
    .max_flat_workgroup_size: 1024
    .name:           Transform_H_H_101_16_16_VW_4
    .private_segment_fixed_size: 64
    .sgpr_count:     36
    .sgpr_spill_count: 0
    .symbol:         Transform_H_H_101_16_16_VW_4.kd
    .uniform_work_group_size: 1
    .uses_dynamic_stack: false
    .vgpr_count:     42
    .vgpr_spill_count: 0
    .wavefront_size: 32
    .workgroup_processor_mode: 1
  - .args:
      - .address_space:  global
        .offset:         0
        .size:           8
        .value_kind:     global_buffer
      - .address_space:  global
        .offset:         8
        .size:           8
        .value_kind:     global_buffer
      - .address_space:  global
        .offset:         16
        .size:           8
        .value_kind:     global_buffer
      - .offset:         24
        .size:           2
        .value_kind:     by_value
      - .address_space:  global
        .offset:         32
        .size:           8
        .value_kind:     global_buffer
      - .offset:         40
        .size:           2
        .value_kind:     by_value
      - .address_space:  global
        .offset:         48
        .size:           8
        .value_kind:     global_buffer
      - .offset:         56
        .size:           4
        .value_kind:     by_value
      - .offset:         60
        .size:           4
        .value_kind:     by_value
      - .offset:         64
        .size:           4
        .value_kind:     by_value
      - .offset:         68
        .size:           4
        .value_kind:     by_value
      - .offset:         72
        .size:           4
        .value_kind:     by_value
      - .offset:         76
        .size:           4
        .value_kind:     by_value
      - .offset:         80
        .size:           1
        .value_kind:     by_value
      - .offset:         81
        .size:           1
        .value_kind:     by_value
      - .offset:         88
        .size:           4
        .value_kind:     hidden_block_count_x
      - .offset:         92
        .size:           4
        .value_kind:     hidden_block_count_y
      - .offset:         96
        .size:           4
        .value_kind:     hidden_block_count_z
      - .offset:         100
        .size:           2
        .value_kind:     hidden_group_size_x
      - .offset:         102
        .size:           2
        .value_kind:     hidden_group_size_y
      - .offset:         104
        .size:           2
        .value_kind:     hidden_group_size_z
      - .offset:         106
        .size:           2
        .value_kind:     hidden_remainder_x
      - .offset:         108
        .size:           2
        .value_kind:     hidden_remainder_y
      - .offset:         110
        .size:           2
        .value_kind:     hidden_remainder_z
      - .offset:         128
        .size:           8
        .value_kind:     hidden_global_offset_x
      - .offset:         136
        .size:           8
        .value_kind:     hidden_global_offset_y
      - .offset:         144
        .size:           8
        .value_kind:     hidden_global_offset_z
      - .offset:         152
        .size:           2
        .value_kind:     hidden_grid_dims
      - .offset:         168
        .size:           8
        .value_kind:     hidden_hostcall_buffer
    .group_segment_fixed_size: 0
    .kernarg_segment_align: 8
    .kernarg_segment_size: 344
    .language:       OpenCL C
    .language_version:
      - 2
      - 0
    .max_flat_workgroup_size: 1024
    .name:           Transform_H_H_100_16_16_VW_1
    .private_segment_fixed_size: 64
    .sgpr_count:     36
    .sgpr_spill_count: 0
    .symbol:         Transform_H_H_100_16_16_VW_1.kd
    .uniform_work_group_size: 1
    .uses_dynamic_stack: false
    .vgpr_count:     42
    .vgpr_spill_count: 0
    .wavefront_size: 32
    .workgroup_processor_mode: 1
  - .args:
      - .address_space:  global
        .offset:         0
        .size:           8
        .value_kind:     global_buffer
      - .address_space:  global
        .offset:         8
        .size:           8
        .value_kind:     global_buffer
      - .address_space:  global
        .offset:         16
        .size:           8
        .value_kind:     global_buffer
      - .offset:         24
        .size:           2
        .value_kind:     by_value
      - .address_space:  global
        .offset:         32
        .size:           8
        .value_kind:     global_buffer
      - .offset:         40
        .size:           2
        .value_kind:     by_value
      - .address_space:  global
        .offset:         48
        .size:           8
        .value_kind:     global_buffer
      - .offset:         56
        .size:           4
        .value_kind:     by_value
      - .offset:         60
        .size:           4
        .value_kind:     by_value
      - .offset:         64
        .size:           4
        .value_kind:     by_value
      - .offset:         68
        .size:           4
        .value_kind:     by_value
      - .offset:         72
        .size:           4
        .value_kind:     by_value
      - .offset:         76
        .size:           4
        .value_kind:     by_value
      - .offset:         80
        .size:           1
        .value_kind:     by_value
      - .offset:         81
        .size:           1
        .value_kind:     by_value
      - .offset:         88
        .size:           4
        .value_kind:     hidden_block_count_x
      - .offset:         92
        .size:           4
        .value_kind:     hidden_block_count_y
      - .offset:         96
        .size:           4
        .value_kind:     hidden_block_count_z
      - .offset:         100
        .size:           2
        .value_kind:     hidden_group_size_x
      - .offset:         102
        .size:           2
        .value_kind:     hidden_group_size_y
      - .offset:         104
        .size:           2
        .value_kind:     hidden_group_size_z
      - .offset:         106
        .size:           2
        .value_kind:     hidden_remainder_x
      - .offset:         108
        .size:           2
        .value_kind:     hidden_remainder_y
      - .offset:         110
        .size:           2
        .value_kind:     hidden_remainder_z
      - .offset:         128
        .size:           8
        .value_kind:     hidden_global_offset_x
      - .offset:         136
        .size:           8
        .value_kind:     hidden_global_offset_y
      - .offset:         144
        .size:           8
        .value_kind:     hidden_global_offset_z
      - .offset:         152
        .size:           2
        .value_kind:     hidden_grid_dims
      - .offset:         168
        .size:           8
        .value_kind:     hidden_hostcall_buffer
    .group_segment_fixed_size: 0
    .kernarg_segment_align: 8
    .kernarg_segment_size: 344
    .language:       OpenCL C
    .language_version:
      - 2
      - 0
    .max_flat_workgroup_size: 1024
    .name:           Transform_H_H_100_16_16_VW_4
    .private_segment_fixed_size: 64
    .sgpr_count:     36
    .sgpr_spill_count: 0
    .symbol:         Transform_H_H_100_16_16_VW_4.kd
    .uniform_work_group_size: 1
    .uses_dynamic_stack: false
    .vgpr_count:     42
    .vgpr_spill_count: 0
    .wavefront_size: 32
    .workgroup_processor_mode: 1
  - .args:
      - .address_space:  global
        .offset:         0
        .size:           8
        .value_kind:     global_buffer
      - .address_space:  global
        .offset:         8
        .size:           8
        .value_kind:     global_buffer
      - .address_space:  global
        .offset:         16
        .size:           8
        .value_kind:     global_buffer
      - .offset:         24
        .size:           2
        .value_kind:     by_value
      - .address_space:  global
        .offset:         32
        .size:           8
        .value_kind:     global_buffer
      - .offset:         40
        .size:           2
        .value_kind:     by_value
      - .address_space:  global
        .offset:         48
        .size:           8
        .value_kind:     global_buffer
      - .offset:         56
        .size:           4
        .value_kind:     by_value
      - .offset:         60
        .size:           4
        .value_kind:     by_value
      - .offset:         64
        .size:           4
        .value_kind:     by_value
      - .offset:         68
        .size:           4
        .value_kind:     by_value
      - .offset:         72
        .size:           4
        .value_kind:     by_value
      - .offset:         76
        .size:           4
        .value_kind:     by_value
      - .offset:         80
        .size:           1
        .value_kind:     by_value
      - .offset:         81
        .size:           1
        .value_kind:     by_value
      - .offset:         88
        .size:           4
        .value_kind:     hidden_block_count_x
      - .offset:         92
        .size:           4
        .value_kind:     hidden_block_count_y
      - .offset:         96
        .size:           4
        .value_kind:     hidden_block_count_z
      - .offset:         100
        .size:           2
        .value_kind:     hidden_group_size_x
      - .offset:         102
        .size:           2
        .value_kind:     hidden_group_size_y
      - .offset:         104
        .size:           2
        .value_kind:     hidden_group_size_z
      - .offset:         106
        .size:           2
        .value_kind:     hidden_remainder_x
      - .offset:         108
        .size:           2
        .value_kind:     hidden_remainder_y
      - .offset:         110
        .size:           2
        .value_kind:     hidden_remainder_z
      - .offset:         128
        .size:           8
        .value_kind:     hidden_global_offset_x
      - .offset:         136
        .size:           8
        .value_kind:     hidden_global_offset_y
      - .offset:         144
        .size:           8
        .value_kind:     hidden_global_offset_z
      - .offset:         152
        .size:           2
        .value_kind:     hidden_grid_dims
      - .offset:         168
        .size:           8
        .value_kind:     hidden_hostcall_buffer
    .group_segment_fixed_size: 0
    .kernarg_segment_align: 8
    .kernarg_segment_size: 344
    .language:       OpenCL C
    .language_version:
      - 2
      - 0
    .max_flat_workgroup_size: 1024
    .name:           Transform_H_H_011_16_16_VW_1
    .private_segment_fixed_size: 64
    .sgpr_count:     36
    .sgpr_spill_count: 0
    .symbol:         Transform_H_H_011_16_16_VW_1.kd
    .uniform_work_group_size: 1
    .uses_dynamic_stack: false
    .vgpr_count:     42
    .vgpr_spill_count: 0
    .wavefront_size: 32
    .workgroup_processor_mode: 1
  - .args:
      - .address_space:  global
        .offset:         0
        .size:           8
        .value_kind:     global_buffer
      - .address_space:  global
        .offset:         8
        .size:           8
        .value_kind:     global_buffer
      - .address_space:  global
        .offset:         16
        .size:           8
        .value_kind:     global_buffer
      - .offset:         24
        .size:           2
        .value_kind:     by_value
      - .address_space:  global
        .offset:         32
        .size:           8
        .value_kind:     global_buffer
      - .offset:         40
        .size:           2
        .value_kind:     by_value
      - .address_space:  global
        .offset:         48
        .size:           8
        .value_kind:     global_buffer
      - .offset:         56
        .size:           4
        .value_kind:     by_value
      - .offset:         60
        .size:           4
        .value_kind:     by_value
      - .offset:         64
        .size:           4
        .value_kind:     by_value
      - .offset:         68
        .size:           4
        .value_kind:     by_value
      - .offset:         72
        .size:           4
        .value_kind:     by_value
      - .offset:         76
        .size:           4
        .value_kind:     by_value
      - .offset:         80
        .size:           1
        .value_kind:     by_value
      - .offset:         81
        .size:           1
        .value_kind:     by_value
      - .offset:         88
        .size:           4
        .value_kind:     hidden_block_count_x
      - .offset:         92
        .size:           4
        .value_kind:     hidden_block_count_y
      - .offset:         96
        .size:           4
        .value_kind:     hidden_block_count_z
      - .offset:         100
        .size:           2
        .value_kind:     hidden_group_size_x
      - .offset:         102
        .size:           2
        .value_kind:     hidden_group_size_y
      - .offset:         104
        .size:           2
        .value_kind:     hidden_group_size_z
      - .offset:         106
        .size:           2
        .value_kind:     hidden_remainder_x
      - .offset:         108
        .size:           2
        .value_kind:     hidden_remainder_y
      - .offset:         110
        .size:           2
        .value_kind:     hidden_remainder_z
      - .offset:         128
        .size:           8
        .value_kind:     hidden_global_offset_x
      - .offset:         136
        .size:           8
        .value_kind:     hidden_global_offset_y
      - .offset:         144
        .size:           8
        .value_kind:     hidden_global_offset_z
      - .offset:         152
        .size:           2
        .value_kind:     hidden_grid_dims
      - .offset:         168
        .size:           8
        .value_kind:     hidden_hostcall_buffer
    .group_segment_fixed_size: 0
    .kernarg_segment_align: 8
    .kernarg_segment_size: 344
    .language:       OpenCL C
    .language_version:
      - 2
      - 0
    .max_flat_workgroup_size: 1024
    .name:           Transform_H_H_011_16_16_VW_4
    .private_segment_fixed_size: 64
    .sgpr_count:     36
    .sgpr_spill_count: 0
    .symbol:         Transform_H_H_011_16_16_VW_4.kd
    .uniform_work_group_size: 1
    .uses_dynamic_stack: false
    .vgpr_count:     42
    .vgpr_spill_count: 0
    .wavefront_size: 32
    .workgroup_processor_mode: 1
  - .args:
      - .address_space:  global
        .offset:         0
        .size:           8
        .value_kind:     global_buffer
      - .address_space:  global
        .offset:         8
        .size:           8
        .value_kind:     global_buffer
      - .address_space:  global
        .offset:         16
        .size:           8
        .value_kind:     global_buffer
      - .offset:         24
        .size:           2
        .value_kind:     by_value
      - .address_space:  global
        .offset:         32
        .size:           8
        .value_kind:     global_buffer
      - .offset:         40
        .size:           2
        .value_kind:     by_value
      - .address_space:  global
        .offset:         48
        .size:           8
        .value_kind:     global_buffer
      - .offset:         56
        .size:           4
        .value_kind:     by_value
      - .offset:         60
        .size:           4
        .value_kind:     by_value
      - .offset:         64
        .size:           4
        .value_kind:     by_value
      - .offset:         68
        .size:           4
        .value_kind:     by_value
      - .offset:         72
        .size:           4
        .value_kind:     by_value
      - .offset:         76
        .size:           4
        .value_kind:     by_value
      - .offset:         80
        .size:           1
        .value_kind:     by_value
      - .offset:         81
        .size:           1
        .value_kind:     by_value
      - .offset:         88
        .size:           4
        .value_kind:     hidden_block_count_x
      - .offset:         92
        .size:           4
        .value_kind:     hidden_block_count_y
      - .offset:         96
        .size:           4
        .value_kind:     hidden_block_count_z
      - .offset:         100
        .size:           2
        .value_kind:     hidden_group_size_x
      - .offset:         102
        .size:           2
        .value_kind:     hidden_group_size_y
      - .offset:         104
        .size:           2
        .value_kind:     hidden_group_size_z
      - .offset:         106
        .size:           2
        .value_kind:     hidden_remainder_x
      - .offset:         108
        .size:           2
        .value_kind:     hidden_remainder_y
      - .offset:         110
        .size:           2
        .value_kind:     hidden_remainder_z
      - .offset:         128
        .size:           8
        .value_kind:     hidden_global_offset_x
      - .offset:         136
        .size:           8
        .value_kind:     hidden_global_offset_y
      - .offset:         144
        .size:           8
        .value_kind:     hidden_global_offset_z
      - .offset:         152
        .size:           2
        .value_kind:     hidden_grid_dims
      - .offset:         168
        .size:           8
        .value_kind:     hidden_hostcall_buffer
    .group_segment_fixed_size: 0
    .kernarg_segment_align: 8
    .kernarg_segment_size: 344
    .language:       OpenCL C
    .language_version:
      - 2
      - 0
    .max_flat_workgroup_size: 1024
    .name:           Transform_H_H_010_16_16_VW_1
    .private_segment_fixed_size: 64
    .sgpr_count:     36
    .sgpr_spill_count: 0
    .symbol:         Transform_H_H_010_16_16_VW_1.kd
    .uniform_work_group_size: 1
    .uses_dynamic_stack: false
    .vgpr_count:     42
    .vgpr_spill_count: 0
    .wavefront_size: 32
    .workgroup_processor_mode: 1
  - .args:
      - .address_space:  global
        .offset:         0
        .size:           8
        .value_kind:     global_buffer
      - .address_space:  global
        .offset:         8
        .size:           8
        .value_kind:     global_buffer
      - .address_space:  global
        .offset:         16
        .size:           8
        .value_kind:     global_buffer
      - .offset:         24
        .size:           2
        .value_kind:     by_value
      - .address_space:  global
        .offset:         32
        .size:           8
        .value_kind:     global_buffer
      - .offset:         40
        .size:           2
        .value_kind:     by_value
      - .address_space:  global
        .offset:         48
        .size:           8
        .value_kind:     global_buffer
      - .offset:         56
        .size:           4
        .value_kind:     by_value
      - .offset:         60
        .size:           4
        .value_kind:     by_value
      - .offset:         64
        .size:           4
        .value_kind:     by_value
      - .offset:         68
        .size:           4
        .value_kind:     by_value
      - .offset:         72
        .size:           4
        .value_kind:     by_value
      - .offset:         76
        .size:           4
        .value_kind:     by_value
      - .offset:         80
        .size:           1
        .value_kind:     by_value
      - .offset:         81
        .size:           1
        .value_kind:     by_value
      - .offset:         88
        .size:           4
        .value_kind:     hidden_block_count_x
      - .offset:         92
        .size:           4
        .value_kind:     hidden_block_count_y
      - .offset:         96
        .size:           4
        .value_kind:     hidden_block_count_z
      - .offset:         100
        .size:           2
        .value_kind:     hidden_group_size_x
      - .offset:         102
        .size:           2
        .value_kind:     hidden_group_size_y
      - .offset:         104
        .size:           2
        .value_kind:     hidden_group_size_z
      - .offset:         106
        .size:           2
        .value_kind:     hidden_remainder_x
      - .offset:         108
        .size:           2
        .value_kind:     hidden_remainder_y
      - .offset:         110
        .size:           2
        .value_kind:     hidden_remainder_z
      - .offset:         128
        .size:           8
        .value_kind:     hidden_global_offset_x
      - .offset:         136
        .size:           8
        .value_kind:     hidden_global_offset_y
      - .offset:         144
        .size:           8
        .value_kind:     hidden_global_offset_z
      - .offset:         152
        .size:           2
        .value_kind:     hidden_grid_dims
      - .offset:         168
        .size:           8
        .value_kind:     hidden_hostcall_buffer
    .group_segment_fixed_size: 0
    .kernarg_segment_align: 8
    .kernarg_segment_size: 344
    .language:       OpenCL C
    .language_version:
      - 2
      - 0
    .max_flat_workgroup_size: 1024
    .name:           Transform_H_H_010_16_16_VW_4
    .private_segment_fixed_size: 64
    .sgpr_count:     36
    .sgpr_spill_count: 0
    .symbol:         Transform_H_H_010_16_16_VW_4.kd
    .uniform_work_group_size: 1
    .uses_dynamic_stack: false
    .vgpr_count:     42
    .vgpr_spill_count: 0
    .wavefront_size: 32
    .workgroup_processor_mode: 1
  - .args:
      - .address_space:  global
        .offset:         0
        .size:           8
        .value_kind:     global_buffer
      - .address_space:  global
        .offset:         8
        .size:           8
        .value_kind:     global_buffer
      - .address_space:  global
        .offset:         16
        .size:           8
        .value_kind:     global_buffer
      - .offset:         24
        .size:           2
        .value_kind:     by_value
      - .address_space:  global
        .offset:         32
        .size:           8
        .value_kind:     global_buffer
      - .offset:         40
        .size:           2
        .value_kind:     by_value
      - .address_space:  global
        .offset:         48
        .size:           8
        .value_kind:     global_buffer
      - .offset:         56
        .size:           4
        .value_kind:     by_value
      - .offset:         60
        .size:           4
        .value_kind:     by_value
      - .offset:         64
        .size:           4
        .value_kind:     by_value
      - .offset:         68
        .size:           4
        .value_kind:     by_value
      - .offset:         72
        .size:           4
        .value_kind:     by_value
      - .offset:         76
        .size:           4
        .value_kind:     by_value
      - .offset:         80
        .size:           1
        .value_kind:     by_value
      - .offset:         81
        .size:           1
        .value_kind:     by_value
      - .offset:         88
        .size:           4
        .value_kind:     hidden_block_count_x
      - .offset:         92
        .size:           4
        .value_kind:     hidden_block_count_y
      - .offset:         96
        .size:           4
        .value_kind:     hidden_block_count_z
      - .offset:         100
        .size:           2
        .value_kind:     hidden_group_size_x
      - .offset:         102
        .size:           2
        .value_kind:     hidden_group_size_y
      - .offset:         104
        .size:           2
        .value_kind:     hidden_group_size_z
      - .offset:         106
        .size:           2
        .value_kind:     hidden_remainder_x
      - .offset:         108
        .size:           2
        .value_kind:     hidden_remainder_y
      - .offset:         110
        .size:           2
        .value_kind:     hidden_remainder_z
      - .offset:         128
        .size:           8
        .value_kind:     hidden_global_offset_x
      - .offset:         136
        .size:           8
        .value_kind:     hidden_global_offset_y
      - .offset:         144
        .size:           8
        .value_kind:     hidden_global_offset_z
      - .offset:         152
        .size:           2
        .value_kind:     hidden_grid_dims
      - .offset:         168
        .size:           8
        .value_kind:     hidden_hostcall_buffer
    .group_segment_fixed_size: 0
    .kernarg_segment_align: 8
    .kernarg_segment_size: 344
    .language:       OpenCL C
    .language_version:
      - 2
      - 0
    .max_flat_workgroup_size: 1024
    .name:           Transform_H_H_001_16_16_VW_1
    .private_segment_fixed_size: 64
    .sgpr_count:     36
    .sgpr_spill_count: 0
    .symbol:         Transform_H_H_001_16_16_VW_1.kd
    .uniform_work_group_size: 1
    .uses_dynamic_stack: false
    .vgpr_count:     42
    .vgpr_spill_count: 0
    .wavefront_size: 32
    .workgroup_processor_mode: 1
  - .args:
      - .address_space:  global
        .offset:         0
        .size:           8
        .value_kind:     global_buffer
      - .address_space:  global
        .offset:         8
        .size:           8
        .value_kind:     global_buffer
      - .address_space:  global
        .offset:         16
        .size:           8
        .value_kind:     global_buffer
      - .offset:         24
        .size:           2
        .value_kind:     by_value
      - .address_space:  global
        .offset:         32
        .size:           8
        .value_kind:     global_buffer
      - .offset:         40
        .size:           2
        .value_kind:     by_value
      - .address_space:  global
        .offset:         48
        .size:           8
        .value_kind:     global_buffer
      - .offset:         56
        .size:           4
        .value_kind:     by_value
      - .offset:         60
        .size:           4
        .value_kind:     by_value
      - .offset:         64
        .size:           4
        .value_kind:     by_value
      - .offset:         68
        .size:           4
        .value_kind:     by_value
      - .offset:         72
        .size:           4
        .value_kind:     by_value
      - .offset:         76
        .size:           4
        .value_kind:     by_value
      - .offset:         80
        .size:           1
        .value_kind:     by_value
      - .offset:         81
        .size:           1
        .value_kind:     by_value
      - .offset:         88
        .size:           4
        .value_kind:     hidden_block_count_x
      - .offset:         92
        .size:           4
        .value_kind:     hidden_block_count_y
      - .offset:         96
        .size:           4
        .value_kind:     hidden_block_count_z
      - .offset:         100
        .size:           2
        .value_kind:     hidden_group_size_x
      - .offset:         102
        .size:           2
        .value_kind:     hidden_group_size_y
      - .offset:         104
        .size:           2
        .value_kind:     hidden_group_size_z
      - .offset:         106
        .size:           2
        .value_kind:     hidden_remainder_x
      - .offset:         108
        .size:           2
        .value_kind:     hidden_remainder_y
      - .offset:         110
        .size:           2
        .value_kind:     hidden_remainder_z
      - .offset:         128
        .size:           8
        .value_kind:     hidden_global_offset_x
      - .offset:         136
        .size:           8
        .value_kind:     hidden_global_offset_y
      - .offset:         144
        .size:           8
        .value_kind:     hidden_global_offset_z
      - .offset:         152
        .size:           2
        .value_kind:     hidden_grid_dims
      - .offset:         168
        .size:           8
        .value_kind:     hidden_hostcall_buffer
    .group_segment_fixed_size: 0
    .kernarg_segment_align: 8
    .kernarg_segment_size: 344
    .language:       OpenCL C
    .language_version:
      - 2
      - 0
    .max_flat_workgroup_size: 1024
    .name:           Transform_H_H_001_16_16_VW_4
    .private_segment_fixed_size: 64
    .sgpr_count:     36
    .sgpr_spill_count: 0
    .symbol:         Transform_H_H_001_16_16_VW_4.kd
    .uniform_work_group_size: 1
    .uses_dynamic_stack: false
    .vgpr_count:     42
    .vgpr_spill_count: 0
    .wavefront_size: 32
    .workgroup_processor_mode: 1
  - .args:
      - .address_space:  global
        .offset:         0
        .size:           8
        .value_kind:     global_buffer
      - .address_space:  global
        .offset:         8
        .size:           8
        .value_kind:     global_buffer
      - .address_space:  global
        .offset:         16
        .size:           8
        .value_kind:     global_buffer
      - .offset:         24
        .size:           2
        .value_kind:     by_value
      - .address_space:  global
        .offset:         32
        .size:           8
        .value_kind:     global_buffer
      - .offset:         40
        .size:           2
        .value_kind:     by_value
      - .address_space:  global
        .offset:         48
        .size:           8
        .value_kind:     global_buffer
      - .offset:         56
        .size:           4
        .value_kind:     by_value
      - .offset:         60
        .size:           4
        .value_kind:     by_value
      - .offset:         64
        .size:           4
        .value_kind:     by_value
      - .offset:         68
        .size:           4
        .value_kind:     by_value
      - .offset:         72
        .size:           4
        .value_kind:     by_value
      - .offset:         76
        .size:           4
        .value_kind:     by_value
      - .offset:         80
        .size:           1
        .value_kind:     by_value
      - .offset:         81
        .size:           1
        .value_kind:     by_value
      - .offset:         88
        .size:           4
        .value_kind:     hidden_block_count_x
      - .offset:         92
        .size:           4
        .value_kind:     hidden_block_count_y
      - .offset:         96
        .size:           4
        .value_kind:     hidden_block_count_z
      - .offset:         100
        .size:           2
        .value_kind:     hidden_group_size_x
      - .offset:         102
        .size:           2
        .value_kind:     hidden_group_size_y
      - .offset:         104
        .size:           2
        .value_kind:     hidden_group_size_z
      - .offset:         106
        .size:           2
        .value_kind:     hidden_remainder_x
      - .offset:         108
        .size:           2
        .value_kind:     hidden_remainder_y
      - .offset:         110
        .size:           2
        .value_kind:     hidden_remainder_z
      - .offset:         128
        .size:           8
        .value_kind:     hidden_global_offset_x
      - .offset:         136
        .size:           8
        .value_kind:     hidden_global_offset_y
      - .offset:         144
        .size:           8
        .value_kind:     hidden_global_offset_z
      - .offset:         152
        .size:           2
        .value_kind:     hidden_grid_dims
      - .offset:         168
        .size:           8
        .value_kind:     hidden_hostcall_buffer
    .group_segment_fixed_size: 0
    .kernarg_segment_align: 8
    .kernarg_segment_size: 344
    .language:       OpenCL C
    .language_version:
      - 2
      - 0
    .max_flat_workgroup_size: 1024
    .name:           Transform_H_H_000_16_16_VW_1
    .private_segment_fixed_size: 64
    .sgpr_count:     36
    .sgpr_spill_count: 0
    .symbol:         Transform_H_H_000_16_16_VW_1.kd
    .uniform_work_group_size: 1
    .uses_dynamic_stack: false
    .vgpr_count:     42
    .vgpr_spill_count: 0
    .wavefront_size: 32
    .workgroup_processor_mode: 1
  - .args:
      - .address_space:  global
        .offset:         0
        .size:           8
        .value_kind:     global_buffer
      - .address_space:  global
        .offset:         8
        .size:           8
        .value_kind:     global_buffer
      - .address_space:  global
        .offset:         16
        .size:           8
        .value_kind:     global_buffer
      - .offset:         24
        .size:           2
        .value_kind:     by_value
      - .address_space:  global
        .offset:         32
        .size:           8
        .value_kind:     global_buffer
      - .offset:         40
        .size:           2
        .value_kind:     by_value
      - .address_space:  global
        .offset:         48
        .size:           8
        .value_kind:     global_buffer
      - .offset:         56
        .size:           4
        .value_kind:     by_value
      - .offset:         60
        .size:           4
        .value_kind:     by_value
      - .offset:         64
        .size:           4
        .value_kind:     by_value
      - .offset:         68
        .size:           4
        .value_kind:     by_value
      - .offset:         72
        .size:           4
        .value_kind:     by_value
      - .offset:         76
        .size:           4
        .value_kind:     by_value
      - .offset:         80
        .size:           1
        .value_kind:     by_value
      - .offset:         81
        .size:           1
        .value_kind:     by_value
      - .offset:         88
        .size:           4
        .value_kind:     hidden_block_count_x
      - .offset:         92
        .size:           4
        .value_kind:     hidden_block_count_y
      - .offset:         96
        .size:           4
        .value_kind:     hidden_block_count_z
      - .offset:         100
        .size:           2
        .value_kind:     hidden_group_size_x
      - .offset:         102
        .size:           2
        .value_kind:     hidden_group_size_y
      - .offset:         104
        .size:           2
        .value_kind:     hidden_group_size_z
      - .offset:         106
        .size:           2
        .value_kind:     hidden_remainder_x
      - .offset:         108
        .size:           2
        .value_kind:     hidden_remainder_y
      - .offset:         110
        .size:           2
        .value_kind:     hidden_remainder_z
      - .offset:         128
        .size:           8
        .value_kind:     hidden_global_offset_x
      - .offset:         136
        .size:           8
        .value_kind:     hidden_global_offset_y
      - .offset:         144
        .size:           8
        .value_kind:     hidden_global_offset_z
      - .offset:         152
        .size:           2
        .value_kind:     hidden_grid_dims
      - .offset:         168
        .size:           8
        .value_kind:     hidden_hostcall_buffer
    .group_segment_fixed_size: 0
    .kernarg_segment_align: 8
    .kernarg_segment_size: 344
    .language:       OpenCL C
    .language_version:
      - 2
      - 0
    .max_flat_workgroup_size: 1024
    .name:           Transform_H_H_000_16_16_VW_4
    .private_segment_fixed_size: 64
    .sgpr_count:     36
    .sgpr_spill_count: 0
    .symbol:         Transform_H_H_000_16_16_VW_4.kd
    .uniform_work_group_size: 1
    .uses_dynamic_stack: false
    .vgpr_count:     42
    .vgpr_spill_count: 0
    .wavefront_size: 32
    .workgroup_processor_mode: 1
  - .args:
      - .address_space:  global
        .offset:         0
        .size:           8
        .value_kind:     global_buffer
      - .address_space:  global
        .offset:         8
        .size:           8
        .value_kind:     global_buffer
      - .address_space:  global
        .offset:         16
        .size:           8
        .value_kind:     global_buffer
      - .offset:         24
        .size:           4
        .value_kind:     by_value
      - .address_space:  global
        .offset:         32
        .size:           8
        .value_kind:     global_buffer
      - .offset:         40
        .size:           4
        .value_kind:     by_value
      - .address_space:  global
        .offset:         48
        .size:           8
        .value_kind:     global_buffer
      - .offset:         56
        .size:           4
        .value_kind:     by_value
      - .offset:         60
        .size:           4
        .value_kind:     by_value
      - .offset:         64
        .size:           4
        .value_kind:     by_value
      - .offset:         68
        .size:           4
        .value_kind:     by_value
      - .offset:         72
        .size:           4
        .value_kind:     by_value
      - .offset:         76
        .size:           4
        .value_kind:     by_value
      - .offset:         80
        .size:           1
        .value_kind:     by_value
      - .offset:         81
        .size:           1
        .value_kind:     by_value
      - .offset:         88
        .size:           4
        .value_kind:     hidden_block_count_x
      - .offset:         92
        .size:           4
        .value_kind:     hidden_block_count_y
      - .offset:         96
        .size:           4
        .value_kind:     hidden_block_count_z
      - .offset:         100
        .size:           2
        .value_kind:     hidden_group_size_x
      - .offset:         102
        .size:           2
        .value_kind:     hidden_group_size_y
      - .offset:         104
        .size:           2
        .value_kind:     hidden_group_size_z
      - .offset:         106
        .size:           2
        .value_kind:     hidden_remainder_x
      - .offset:         108
        .size:           2
        .value_kind:     hidden_remainder_y
      - .offset:         110
        .size:           2
        .value_kind:     hidden_remainder_z
      - .offset:         128
        .size:           8
        .value_kind:     hidden_global_offset_x
      - .offset:         136
        .size:           8
        .value_kind:     hidden_global_offset_y
      - .offset:         144
        .size:           8
        .value_kind:     hidden_global_offset_z
      - .offset:         152
        .size:           2
        .value_kind:     hidden_grid_dims
      - .offset:         168
        .size:           8
        .value_kind:     hidden_hostcall_buffer
    .group_segment_fixed_size: 0
    .kernarg_segment_align: 8
    .kernarg_segment_size: 344
    .language:       OpenCL C
    .language_version:
      - 2
      - 0
    .max_flat_workgroup_size: 1024
    .name:           Transform_H_S_111_16_16_VW_1
    .private_segment_fixed_size: 64
    .sgpr_count:     36
    .sgpr_spill_count: 0
    .symbol:         Transform_H_S_111_16_16_VW_1.kd
    .uniform_work_group_size: 1
    .uses_dynamic_stack: false
    .vgpr_count:     42
    .vgpr_spill_count: 0
    .wavefront_size: 32
    .workgroup_processor_mode: 1
  - .args:
      - .address_space:  global
        .offset:         0
        .size:           8
        .value_kind:     global_buffer
      - .address_space:  global
        .offset:         8
        .size:           8
        .value_kind:     global_buffer
      - .address_space:  global
        .offset:         16
        .size:           8
        .value_kind:     global_buffer
      - .offset:         24
        .size:           4
        .value_kind:     by_value
      - .address_space:  global
        .offset:         32
        .size:           8
        .value_kind:     global_buffer
      - .offset:         40
        .size:           4
        .value_kind:     by_value
      - .address_space:  global
        .offset:         48
        .size:           8
        .value_kind:     global_buffer
      - .offset:         56
        .size:           4
        .value_kind:     by_value
      - .offset:         60
        .size:           4
        .value_kind:     by_value
      - .offset:         64
        .size:           4
        .value_kind:     by_value
      - .offset:         68
        .size:           4
        .value_kind:     by_value
      - .offset:         72
        .size:           4
        .value_kind:     by_value
      - .offset:         76
        .size:           4
        .value_kind:     by_value
      - .offset:         80
        .size:           1
        .value_kind:     by_value
      - .offset:         81
        .size:           1
        .value_kind:     by_value
      - .offset:         88
        .size:           4
        .value_kind:     hidden_block_count_x
      - .offset:         92
        .size:           4
        .value_kind:     hidden_block_count_y
      - .offset:         96
        .size:           4
        .value_kind:     hidden_block_count_z
      - .offset:         100
        .size:           2
        .value_kind:     hidden_group_size_x
      - .offset:         102
        .size:           2
        .value_kind:     hidden_group_size_y
      - .offset:         104
        .size:           2
        .value_kind:     hidden_group_size_z
      - .offset:         106
        .size:           2
        .value_kind:     hidden_remainder_x
      - .offset:         108
        .size:           2
        .value_kind:     hidden_remainder_y
      - .offset:         110
        .size:           2
        .value_kind:     hidden_remainder_z
      - .offset:         128
        .size:           8
        .value_kind:     hidden_global_offset_x
      - .offset:         136
        .size:           8
        .value_kind:     hidden_global_offset_y
      - .offset:         144
        .size:           8
        .value_kind:     hidden_global_offset_z
      - .offset:         152
        .size:           2
        .value_kind:     hidden_grid_dims
      - .offset:         168
        .size:           8
        .value_kind:     hidden_hostcall_buffer
    .group_segment_fixed_size: 0
    .kernarg_segment_align: 8
    .kernarg_segment_size: 344
    .language:       OpenCL C
    .language_version:
      - 2
      - 0
    .max_flat_workgroup_size: 1024
    .name:           Transform_H_S_111_16_16_VW_4
    .private_segment_fixed_size: 64
    .sgpr_count:     36
    .sgpr_spill_count: 0
    .symbol:         Transform_H_S_111_16_16_VW_4.kd
    .uniform_work_group_size: 1
    .uses_dynamic_stack: false
    .vgpr_count:     42
    .vgpr_spill_count: 0
    .wavefront_size: 32
    .workgroup_processor_mode: 1
  - .args:
      - .address_space:  global
        .offset:         0
        .size:           8
        .value_kind:     global_buffer
      - .address_space:  global
        .offset:         8
        .size:           8
        .value_kind:     global_buffer
      - .address_space:  global
        .offset:         16
        .size:           8
        .value_kind:     global_buffer
      - .offset:         24
        .size:           4
        .value_kind:     by_value
      - .address_space:  global
        .offset:         32
        .size:           8
        .value_kind:     global_buffer
      - .offset:         40
        .size:           4
        .value_kind:     by_value
      - .address_space:  global
        .offset:         48
        .size:           8
        .value_kind:     global_buffer
      - .offset:         56
        .size:           4
        .value_kind:     by_value
      - .offset:         60
        .size:           4
        .value_kind:     by_value
      - .offset:         64
        .size:           4
        .value_kind:     by_value
      - .offset:         68
        .size:           4
        .value_kind:     by_value
      - .offset:         72
        .size:           4
        .value_kind:     by_value
      - .offset:         76
        .size:           4
        .value_kind:     by_value
      - .offset:         80
        .size:           1
        .value_kind:     by_value
      - .offset:         81
        .size:           1
        .value_kind:     by_value
      - .offset:         88
        .size:           4
        .value_kind:     hidden_block_count_x
      - .offset:         92
        .size:           4
        .value_kind:     hidden_block_count_y
      - .offset:         96
        .size:           4
        .value_kind:     hidden_block_count_z
      - .offset:         100
        .size:           2
        .value_kind:     hidden_group_size_x
      - .offset:         102
        .size:           2
        .value_kind:     hidden_group_size_y
      - .offset:         104
        .size:           2
        .value_kind:     hidden_group_size_z
      - .offset:         106
        .size:           2
        .value_kind:     hidden_remainder_x
      - .offset:         108
        .size:           2
        .value_kind:     hidden_remainder_y
      - .offset:         110
        .size:           2
        .value_kind:     hidden_remainder_z
      - .offset:         128
        .size:           8
        .value_kind:     hidden_global_offset_x
      - .offset:         136
        .size:           8
        .value_kind:     hidden_global_offset_y
      - .offset:         144
        .size:           8
        .value_kind:     hidden_global_offset_z
      - .offset:         152
        .size:           2
        .value_kind:     hidden_grid_dims
      - .offset:         168
        .size:           8
        .value_kind:     hidden_hostcall_buffer
    .group_segment_fixed_size: 0
    .kernarg_segment_align: 8
    .kernarg_segment_size: 344
    .language:       OpenCL C
    .language_version:
      - 2
      - 0
    .max_flat_workgroup_size: 1024
    .name:           Transform_H_S_110_16_16_VW_1
    .private_segment_fixed_size: 64
    .sgpr_count:     36
    .sgpr_spill_count: 0
    .symbol:         Transform_H_S_110_16_16_VW_1.kd
    .uniform_work_group_size: 1
    .uses_dynamic_stack: false
    .vgpr_count:     42
    .vgpr_spill_count: 0
    .wavefront_size: 32
    .workgroup_processor_mode: 1
  - .args:
      - .address_space:  global
        .offset:         0
        .size:           8
        .value_kind:     global_buffer
      - .address_space:  global
        .offset:         8
        .size:           8
        .value_kind:     global_buffer
      - .address_space:  global
        .offset:         16
        .size:           8
        .value_kind:     global_buffer
      - .offset:         24
        .size:           4
        .value_kind:     by_value
      - .address_space:  global
        .offset:         32
        .size:           8
        .value_kind:     global_buffer
      - .offset:         40
        .size:           4
        .value_kind:     by_value
      - .address_space:  global
        .offset:         48
        .size:           8
        .value_kind:     global_buffer
      - .offset:         56
        .size:           4
        .value_kind:     by_value
      - .offset:         60
        .size:           4
        .value_kind:     by_value
      - .offset:         64
        .size:           4
        .value_kind:     by_value
      - .offset:         68
        .size:           4
        .value_kind:     by_value
      - .offset:         72
        .size:           4
        .value_kind:     by_value
      - .offset:         76
        .size:           4
        .value_kind:     by_value
      - .offset:         80
        .size:           1
        .value_kind:     by_value
      - .offset:         81
        .size:           1
        .value_kind:     by_value
      - .offset:         88
        .size:           4
        .value_kind:     hidden_block_count_x
      - .offset:         92
        .size:           4
        .value_kind:     hidden_block_count_y
      - .offset:         96
        .size:           4
        .value_kind:     hidden_block_count_z
      - .offset:         100
        .size:           2
        .value_kind:     hidden_group_size_x
      - .offset:         102
        .size:           2
        .value_kind:     hidden_group_size_y
      - .offset:         104
        .size:           2
        .value_kind:     hidden_group_size_z
      - .offset:         106
        .size:           2
        .value_kind:     hidden_remainder_x
      - .offset:         108
        .size:           2
        .value_kind:     hidden_remainder_y
      - .offset:         110
        .size:           2
        .value_kind:     hidden_remainder_z
      - .offset:         128
        .size:           8
        .value_kind:     hidden_global_offset_x
      - .offset:         136
        .size:           8
        .value_kind:     hidden_global_offset_y
      - .offset:         144
        .size:           8
        .value_kind:     hidden_global_offset_z
      - .offset:         152
        .size:           2
        .value_kind:     hidden_grid_dims
      - .offset:         168
        .size:           8
        .value_kind:     hidden_hostcall_buffer
    .group_segment_fixed_size: 0
    .kernarg_segment_align: 8
    .kernarg_segment_size: 344
    .language:       OpenCL C
    .language_version:
      - 2
      - 0
    .max_flat_workgroup_size: 1024
    .name:           Transform_H_S_110_16_16_VW_4
    .private_segment_fixed_size: 64
    .sgpr_count:     36
    .sgpr_spill_count: 0
    .symbol:         Transform_H_S_110_16_16_VW_4.kd
    .uniform_work_group_size: 1
    .uses_dynamic_stack: false
    .vgpr_count:     42
    .vgpr_spill_count: 0
    .wavefront_size: 32
    .workgroup_processor_mode: 1
  - .args:
      - .address_space:  global
        .offset:         0
        .size:           8
        .value_kind:     global_buffer
      - .address_space:  global
        .offset:         8
        .size:           8
        .value_kind:     global_buffer
      - .address_space:  global
        .offset:         16
        .size:           8
        .value_kind:     global_buffer
      - .offset:         24
        .size:           4
        .value_kind:     by_value
      - .address_space:  global
        .offset:         32
        .size:           8
        .value_kind:     global_buffer
      - .offset:         40
        .size:           4
        .value_kind:     by_value
      - .address_space:  global
        .offset:         48
        .size:           8
        .value_kind:     global_buffer
      - .offset:         56
        .size:           4
        .value_kind:     by_value
      - .offset:         60
        .size:           4
        .value_kind:     by_value
      - .offset:         64
        .size:           4
        .value_kind:     by_value
      - .offset:         68
        .size:           4
        .value_kind:     by_value
      - .offset:         72
        .size:           4
        .value_kind:     by_value
      - .offset:         76
        .size:           4
        .value_kind:     by_value
      - .offset:         80
        .size:           1
        .value_kind:     by_value
      - .offset:         81
        .size:           1
        .value_kind:     by_value
      - .offset:         88
        .size:           4
        .value_kind:     hidden_block_count_x
      - .offset:         92
        .size:           4
        .value_kind:     hidden_block_count_y
      - .offset:         96
        .size:           4
        .value_kind:     hidden_block_count_z
      - .offset:         100
        .size:           2
        .value_kind:     hidden_group_size_x
      - .offset:         102
        .size:           2
        .value_kind:     hidden_group_size_y
      - .offset:         104
        .size:           2
        .value_kind:     hidden_group_size_z
      - .offset:         106
        .size:           2
        .value_kind:     hidden_remainder_x
      - .offset:         108
        .size:           2
        .value_kind:     hidden_remainder_y
      - .offset:         110
        .size:           2
        .value_kind:     hidden_remainder_z
      - .offset:         128
        .size:           8
        .value_kind:     hidden_global_offset_x
      - .offset:         136
        .size:           8
        .value_kind:     hidden_global_offset_y
      - .offset:         144
        .size:           8
        .value_kind:     hidden_global_offset_z
      - .offset:         152
        .size:           2
        .value_kind:     hidden_grid_dims
      - .offset:         168
        .size:           8
        .value_kind:     hidden_hostcall_buffer
    .group_segment_fixed_size: 0
    .kernarg_segment_align: 8
    .kernarg_segment_size: 344
    .language:       OpenCL C
    .language_version:
      - 2
      - 0
    .max_flat_workgroup_size: 1024
    .name:           Transform_H_S_101_16_16_VW_1
    .private_segment_fixed_size: 64
    .sgpr_count:     36
    .sgpr_spill_count: 0
    .symbol:         Transform_H_S_101_16_16_VW_1.kd
    .uniform_work_group_size: 1
    .uses_dynamic_stack: false
    .vgpr_count:     42
    .vgpr_spill_count: 0
    .wavefront_size: 32
    .workgroup_processor_mode: 1
  - .args:
      - .address_space:  global
        .offset:         0
        .size:           8
        .value_kind:     global_buffer
      - .address_space:  global
        .offset:         8
        .size:           8
        .value_kind:     global_buffer
      - .address_space:  global
        .offset:         16
        .size:           8
        .value_kind:     global_buffer
      - .offset:         24
        .size:           4
        .value_kind:     by_value
      - .address_space:  global
        .offset:         32
        .size:           8
        .value_kind:     global_buffer
      - .offset:         40
        .size:           4
        .value_kind:     by_value
      - .address_space:  global
        .offset:         48
        .size:           8
        .value_kind:     global_buffer
      - .offset:         56
        .size:           4
        .value_kind:     by_value
      - .offset:         60
        .size:           4
        .value_kind:     by_value
      - .offset:         64
        .size:           4
        .value_kind:     by_value
      - .offset:         68
        .size:           4
        .value_kind:     by_value
      - .offset:         72
        .size:           4
        .value_kind:     by_value
      - .offset:         76
        .size:           4
        .value_kind:     by_value
      - .offset:         80
        .size:           1
        .value_kind:     by_value
      - .offset:         81
        .size:           1
        .value_kind:     by_value
      - .offset:         88
        .size:           4
        .value_kind:     hidden_block_count_x
      - .offset:         92
        .size:           4
        .value_kind:     hidden_block_count_y
      - .offset:         96
        .size:           4
        .value_kind:     hidden_block_count_z
      - .offset:         100
        .size:           2
        .value_kind:     hidden_group_size_x
      - .offset:         102
        .size:           2
        .value_kind:     hidden_group_size_y
      - .offset:         104
        .size:           2
        .value_kind:     hidden_group_size_z
      - .offset:         106
        .size:           2
        .value_kind:     hidden_remainder_x
      - .offset:         108
        .size:           2
        .value_kind:     hidden_remainder_y
      - .offset:         110
        .size:           2
        .value_kind:     hidden_remainder_z
      - .offset:         128
        .size:           8
        .value_kind:     hidden_global_offset_x
      - .offset:         136
        .size:           8
        .value_kind:     hidden_global_offset_y
      - .offset:         144
        .size:           8
        .value_kind:     hidden_global_offset_z
      - .offset:         152
        .size:           2
        .value_kind:     hidden_grid_dims
      - .offset:         168
        .size:           8
        .value_kind:     hidden_hostcall_buffer
    .group_segment_fixed_size: 0
    .kernarg_segment_align: 8
    .kernarg_segment_size: 344
    .language:       OpenCL C
    .language_version:
      - 2
      - 0
    .max_flat_workgroup_size: 1024
    .name:           Transform_H_S_101_16_16_VW_4
    .private_segment_fixed_size: 64
    .sgpr_count:     36
    .sgpr_spill_count: 0
    .symbol:         Transform_H_S_101_16_16_VW_4.kd
    .uniform_work_group_size: 1
    .uses_dynamic_stack: false
    .vgpr_count:     42
    .vgpr_spill_count: 0
    .wavefront_size: 32
    .workgroup_processor_mode: 1
  - .args:
      - .address_space:  global
        .offset:         0
        .size:           8
        .value_kind:     global_buffer
      - .address_space:  global
        .offset:         8
        .size:           8
        .value_kind:     global_buffer
      - .address_space:  global
        .offset:         16
        .size:           8
        .value_kind:     global_buffer
      - .offset:         24
        .size:           4
        .value_kind:     by_value
      - .address_space:  global
        .offset:         32
        .size:           8
        .value_kind:     global_buffer
      - .offset:         40
        .size:           4
        .value_kind:     by_value
      - .address_space:  global
        .offset:         48
        .size:           8
        .value_kind:     global_buffer
      - .offset:         56
        .size:           4
        .value_kind:     by_value
      - .offset:         60
        .size:           4
        .value_kind:     by_value
      - .offset:         64
        .size:           4
        .value_kind:     by_value
      - .offset:         68
        .size:           4
        .value_kind:     by_value
      - .offset:         72
        .size:           4
        .value_kind:     by_value
      - .offset:         76
        .size:           4
        .value_kind:     by_value
      - .offset:         80
        .size:           1
        .value_kind:     by_value
      - .offset:         81
        .size:           1
        .value_kind:     by_value
      - .offset:         88
        .size:           4
        .value_kind:     hidden_block_count_x
      - .offset:         92
        .size:           4
        .value_kind:     hidden_block_count_y
      - .offset:         96
        .size:           4
        .value_kind:     hidden_block_count_z
      - .offset:         100
        .size:           2
        .value_kind:     hidden_group_size_x
      - .offset:         102
        .size:           2
        .value_kind:     hidden_group_size_y
      - .offset:         104
        .size:           2
        .value_kind:     hidden_group_size_z
      - .offset:         106
        .size:           2
        .value_kind:     hidden_remainder_x
      - .offset:         108
        .size:           2
        .value_kind:     hidden_remainder_y
      - .offset:         110
        .size:           2
        .value_kind:     hidden_remainder_z
      - .offset:         128
        .size:           8
        .value_kind:     hidden_global_offset_x
      - .offset:         136
        .size:           8
        .value_kind:     hidden_global_offset_y
      - .offset:         144
        .size:           8
        .value_kind:     hidden_global_offset_z
      - .offset:         152
        .size:           2
        .value_kind:     hidden_grid_dims
      - .offset:         168
        .size:           8
        .value_kind:     hidden_hostcall_buffer
    .group_segment_fixed_size: 0
    .kernarg_segment_align: 8
    .kernarg_segment_size: 344
    .language:       OpenCL C
    .language_version:
      - 2
      - 0
    .max_flat_workgroup_size: 1024
    .name:           Transform_H_S_100_16_16_VW_1
    .private_segment_fixed_size: 64
    .sgpr_count:     36
    .sgpr_spill_count: 0
    .symbol:         Transform_H_S_100_16_16_VW_1.kd
    .uniform_work_group_size: 1
    .uses_dynamic_stack: false
    .vgpr_count:     42
    .vgpr_spill_count: 0
    .wavefront_size: 32
    .workgroup_processor_mode: 1
  - .args:
      - .address_space:  global
        .offset:         0
        .size:           8
        .value_kind:     global_buffer
      - .address_space:  global
        .offset:         8
        .size:           8
        .value_kind:     global_buffer
      - .address_space:  global
        .offset:         16
        .size:           8
        .value_kind:     global_buffer
      - .offset:         24
        .size:           4
        .value_kind:     by_value
      - .address_space:  global
        .offset:         32
        .size:           8
        .value_kind:     global_buffer
      - .offset:         40
        .size:           4
        .value_kind:     by_value
      - .address_space:  global
        .offset:         48
        .size:           8
        .value_kind:     global_buffer
      - .offset:         56
        .size:           4
        .value_kind:     by_value
      - .offset:         60
        .size:           4
        .value_kind:     by_value
      - .offset:         64
        .size:           4
        .value_kind:     by_value
      - .offset:         68
        .size:           4
        .value_kind:     by_value
      - .offset:         72
        .size:           4
        .value_kind:     by_value
      - .offset:         76
        .size:           4
        .value_kind:     by_value
      - .offset:         80
        .size:           1
        .value_kind:     by_value
      - .offset:         81
        .size:           1
        .value_kind:     by_value
      - .offset:         88
        .size:           4
        .value_kind:     hidden_block_count_x
      - .offset:         92
        .size:           4
        .value_kind:     hidden_block_count_y
      - .offset:         96
        .size:           4
        .value_kind:     hidden_block_count_z
      - .offset:         100
        .size:           2
        .value_kind:     hidden_group_size_x
      - .offset:         102
        .size:           2
        .value_kind:     hidden_group_size_y
      - .offset:         104
        .size:           2
        .value_kind:     hidden_group_size_z
      - .offset:         106
        .size:           2
        .value_kind:     hidden_remainder_x
      - .offset:         108
        .size:           2
        .value_kind:     hidden_remainder_y
      - .offset:         110
        .size:           2
        .value_kind:     hidden_remainder_z
      - .offset:         128
        .size:           8
        .value_kind:     hidden_global_offset_x
      - .offset:         136
        .size:           8
        .value_kind:     hidden_global_offset_y
      - .offset:         144
        .size:           8
        .value_kind:     hidden_global_offset_z
      - .offset:         152
        .size:           2
        .value_kind:     hidden_grid_dims
      - .offset:         168
        .size:           8
        .value_kind:     hidden_hostcall_buffer
    .group_segment_fixed_size: 0
    .kernarg_segment_align: 8
    .kernarg_segment_size: 344
    .language:       OpenCL C
    .language_version:
      - 2
      - 0
    .max_flat_workgroup_size: 1024
    .name:           Transform_H_S_100_16_16_VW_4
    .private_segment_fixed_size: 64
    .sgpr_count:     36
    .sgpr_spill_count: 0
    .symbol:         Transform_H_S_100_16_16_VW_4.kd
    .uniform_work_group_size: 1
    .uses_dynamic_stack: false
    .vgpr_count:     42
    .vgpr_spill_count: 0
    .wavefront_size: 32
    .workgroup_processor_mode: 1
  - .args:
      - .address_space:  global
        .offset:         0
        .size:           8
        .value_kind:     global_buffer
      - .address_space:  global
        .offset:         8
        .size:           8
        .value_kind:     global_buffer
      - .address_space:  global
        .offset:         16
        .size:           8
        .value_kind:     global_buffer
      - .offset:         24
        .size:           4
        .value_kind:     by_value
      - .address_space:  global
        .offset:         32
        .size:           8
        .value_kind:     global_buffer
      - .offset:         40
        .size:           4
        .value_kind:     by_value
      - .address_space:  global
        .offset:         48
        .size:           8
        .value_kind:     global_buffer
      - .offset:         56
        .size:           4
        .value_kind:     by_value
      - .offset:         60
        .size:           4
        .value_kind:     by_value
      - .offset:         64
        .size:           4
        .value_kind:     by_value
      - .offset:         68
        .size:           4
        .value_kind:     by_value
      - .offset:         72
        .size:           4
        .value_kind:     by_value
      - .offset:         76
        .size:           4
        .value_kind:     by_value
      - .offset:         80
        .size:           1
        .value_kind:     by_value
      - .offset:         81
        .size:           1
        .value_kind:     by_value
      - .offset:         88
        .size:           4
        .value_kind:     hidden_block_count_x
      - .offset:         92
        .size:           4
        .value_kind:     hidden_block_count_y
      - .offset:         96
        .size:           4
        .value_kind:     hidden_block_count_z
      - .offset:         100
        .size:           2
        .value_kind:     hidden_group_size_x
      - .offset:         102
        .size:           2
        .value_kind:     hidden_group_size_y
      - .offset:         104
        .size:           2
        .value_kind:     hidden_group_size_z
      - .offset:         106
        .size:           2
        .value_kind:     hidden_remainder_x
      - .offset:         108
        .size:           2
        .value_kind:     hidden_remainder_y
      - .offset:         110
        .size:           2
        .value_kind:     hidden_remainder_z
      - .offset:         128
        .size:           8
        .value_kind:     hidden_global_offset_x
      - .offset:         136
        .size:           8
        .value_kind:     hidden_global_offset_y
      - .offset:         144
        .size:           8
        .value_kind:     hidden_global_offset_z
      - .offset:         152
        .size:           2
        .value_kind:     hidden_grid_dims
      - .offset:         168
        .size:           8
        .value_kind:     hidden_hostcall_buffer
    .group_segment_fixed_size: 0
    .kernarg_segment_align: 8
    .kernarg_segment_size: 344
    .language:       OpenCL C
    .language_version:
      - 2
      - 0
    .max_flat_workgroup_size: 1024
    .name:           Transform_H_S_011_16_16_VW_1
    .private_segment_fixed_size: 64
    .sgpr_count:     36
    .sgpr_spill_count: 0
    .symbol:         Transform_H_S_011_16_16_VW_1.kd
    .uniform_work_group_size: 1
    .uses_dynamic_stack: false
    .vgpr_count:     42
    .vgpr_spill_count: 0
    .wavefront_size: 32
    .workgroup_processor_mode: 1
  - .args:
      - .address_space:  global
        .offset:         0
        .size:           8
        .value_kind:     global_buffer
      - .address_space:  global
        .offset:         8
        .size:           8
        .value_kind:     global_buffer
      - .address_space:  global
        .offset:         16
        .size:           8
        .value_kind:     global_buffer
      - .offset:         24
        .size:           4
        .value_kind:     by_value
      - .address_space:  global
        .offset:         32
        .size:           8
        .value_kind:     global_buffer
      - .offset:         40
        .size:           4
        .value_kind:     by_value
      - .address_space:  global
        .offset:         48
        .size:           8
        .value_kind:     global_buffer
      - .offset:         56
        .size:           4
        .value_kind:     by_value
      - .offset:         60
        .size:           4
        .value_kind:     by_value
      - .offset:         64
        .size:           4
        .value_kind:     by_value
      - .offset:         68
        .size:           4
        .value_kind:     by_value
      - .offset:         72
        .size:           4
        .value_kind:     by_value
      - .offset:         76
        .size:           4
        .value_kind:     by_value
      - .offset:         80
        .size:           1
        .value_kind:     by_value
      - .offset:         81
        .size:           1
        .value_kind:     by_value
      - .offset:         88
        .size:           4
        .value_kind:     hidden_block_count_x
      - .offset:         92
        .size:           4
        .value_kind:     hidden_block_count_y
      - .offset:         96
        .size:           4
        .value_kind:     hidden_block_count_z
      - .offset:         100
        .size:           2
        .value_kind:     hidden_group_size_x
      - .offset:         102
        .size:           2
        .value_kind:     hidden_group_size_y
      - .offset:         104
        .size:           2
        .value_kind:     hidden_group_size_z
      - .offset:         106
        .size:           2
        .value_kind:     hidden_remainder_x
      - .offset:         108
        .size:           2
        .value_kind:     hidden_remainder_y
      - .offset:         110
        .size:           2
        .value_kind:     hidden_remainder_z
      - .offset:         128
        .size:           8
        .value_kind:     hidden_global_offset_x
      - .offset:         136
        .size:           8
        .value_kind:     hidden_global_offset_y
      - .offset:         144
        .size:           8
        .value_kind:     hidden_global_offset_z
      - .offset:         152
        .size:           2
        .value_kind:     hidden_grid_dims
      - .offset:         168
        .size:           8
        .value_kind:     hidden_hostcall_buffer
    .group_segment_fixed_size: 0
    .kernarg_segment_align: 8
    .kernarg_segment_size: 344
    .language:       OpenCL C
    .language_version:
      - 2
      - 0
    .max_flat_workgroup_size: 1024
    .name:           Transform_H_S_011_16_16_VW_4
    .private_segment_fixed_size: 64
    .sgpr_count:     36
    .sgpr_spill_count: 0
    .symbol:         Transform_H_S_011_16_16_VW_4.kd
    .uniform_work_group_size: 1
    .uses_dynamic_stack: false
    .vgpr_count:     42
    .vgpr_spill_count: 0
    .wavefront_size: 32
    .workgroup_processor_mode: 1
  - .args:
      - .address_space:  global
        .offset:         0
        .size:           8
        .value_kind:     global_buffer
      - .address_space:  global
        .offset:         8
        .size:           8
        .value_kind:     global_buffer
      - .address_space:  global
        .offset:         16
        .size:           8
        .value_kind:     global_buffer
      - .offset:         24
        .size:           4
        .value_kind:     by_value
      - .address_space:  global
        .offset:         32
        .size:           8
        .value_kind:     global_buffer
      - .offset:         40
        .size:           4
        .value_kind:     by_value
      - .address_space:  global
        .offset:         48
        .size:           8
        .value_kind:     global_buffer
      - .offset:         56
        .size:           4
        .value_kind:     by_value
      - .offset:         60
        .size:           4
        .value_kind:     by_value
      - .offset:         64
        .size:           4
        .value_kind:     by_value
      - .offset:         68
        .size:           4
        .value_kind:     by_value
      - .offset:         72
        .size:           4
        .value_kind:     by_value
      - .offset:         76
        .size:           4
        .value_kind:     by_value
      - .offset:         80
        .size:           1
        .value_kind:     by_value
      - .offset:         81
        .size:           1
        .value_kind:     by_value
      - .offset:         88
        .size:           4
        .value_kind:     hidden_block_count_x
      - .offset:         92
        .size:           4
        .value_kind:     hidden_block_count_y
      - .offset:         96
        .size:           4
        .value_kind:     hidden_block_count_z
      - .offset:         100
        .size:           2
        .value_kind:     hidden_group_size_x
      - .offset:         102
        .size:           2
        .value_kind:     hidden_group_size_y
      - .offset:         104
        .size:           2
        .value_kind:     hidden_group_size_z
      - .offset:         106
        .size:           2
        .value_kind:     hidden_remainder_x
      - .offset:         108
        .size:           2
        .value_kind:     hidden_remainder_y
      - .offset:         110
        .size:           2
        .value_kind:     hidden_remainder_z
      - .offset:         128
        .size:           8
        .value_kind:     hidden_global_offset_x
      - .offset:         136
        .size:           8
        .value_kind:     hidden_global_offset_y
      - .offset:         144
        .size:           8
        .value_kind:     hidden_global_offset_z
      - .offset:         152
        .size:           2
        .value_kind:     hidden_grid_dims
      - .offset:         168
        .size:           8
        .value_kind:     hidden_hostcall_buffer
    .group_segment_fixed_size: 0
    .kernarg_segment_align: 8
    .kernarg_segment_size: 344
    .language:       OpenCL C
    .language_version:
      - 2
      - 0
    .max_flat_workgroup_size: 1024
    .name:           Transform_H_S_010_16_16_VW_1
    .private_segment_fixed_size: 64
    .sgpr_count:     36
    .sgpr_spill_count: 0
    .symbol:         Transform_H_S_010_16_16_VW_1.kd
    .uniform_work_group_size: 1
    .uses_dynamic_stack: false
    .vgpr_count:     42
    .vgpr_spill_count: 0
    .wavefront_size: 32
    .workgroup_processor_mode: 1
  - .args:
      - .address_space:  global
        .offset:         0
        .size:           8
        .value_kind:     global_buffer
      - .address_space:  global
        .offset:         8
        .size:           8
        .value_kind:     global_buffer
      - .address_space:  global
        .offset:         16
        .size:           8
        .value_kind:     global_buffer
      - .offset:         24
        .size:           4
        .value_kind:     by_value
      - .address_space:  global
        .offset:         32
        .size:           8
        .value_kind:     global_buffer
      - .offset:         40
        .size:           4
        .value_kind:     by_value
      - .address_space:  global
        .offset:         48
        .size:           8
        .value_kind:     global_buffer
      - .offset:         56
        .size:           4
        .value_kind:     by_value
      - .offset:         60
        .size:           4
        .value_kind:     by_value
      - .offset:         64
        .size:           4
        .value_kind:     by_value
      - .offset:         68
        .size:           4
        .value_kind:     by_value
      - .offset:         72
        .size:           4
        .value_kind:     by_value
      - .offset:         76
        .size:           4
        .value_kind:     by_value
      - .offset:         80
        .size:           1
        .value_kind:     by_value
      - .offset:         81
        .size:           1
        .value_kind:     by_value
      - .offset:         88
        .size:           4
        .value_kind:     hidden_block_count_x
      - .offset:         92
        .size:           4
        .value_kind:     hidden_block_count_y
      - .offset:         96
        .size:           4
        .value_kind:     hidden_block_count_z
      - .offset:         100
        .size:           2
        .value_kind:     hidden_group_size_x
      - .offset:         102
        .size:           2
        .value_kind:     hidden_group_size_y
      - .offset:         104
        .size:           2
        .value_kind:     hidden_group_size_z
      - .offset:         106
        .size:           2
        .value_kind:     hidden_remainder_x
      - .offset:         108
        .size:           2
        .value_kind:     hidden_remainder_y
      - .offset:         110
        .size:           2
        .value_kind:     hidden_remainder_z
      - .offset:         128
        .size:           8
        .value_kind:     hidden_global_offset_x
      - .offset:         136
        .size:           8
        .value_kind:     hidden_global_offset_y
      - .offset:         144
        .size:           8
        .value_kind:     hidden_global_offset_z
      - .offset:         152
        .size:           2
        .value_kind:     hidden_grid_dims
      - .offset:         168
        .size:           8
        .value_kind:     hidden_hostcall_buffer
    .group_segment_fixed_size: 0
    .kernarg_segment_align: 8
    .kernarg_segment_size: 344
    .language:       OpenCL C
    .language_version:
      - 2
      - 0
    .max_flat_workgroup_size: 1024
    .name:           Transform_H_S_010_16_16_VW_4
    .private_segment_fixed_size: 64
    .sgpr_count:     36
    .sgpr_spill_count: 0
    .symbol:         Transform_H_S_010_16_16_VW_4.kd
    .uniform_work_group_size: 1
    .uses_dynamic_stack: false
    .vgpr_count:     42
    .vgpr_spill_count: 0
    .wavefront_size: 32
    .workgroup_processor_mode: 1
  - .args:
      - .address_space:  global
        .offset:         0
        .size:           8
        .value_kind:     global_buffer
      - .address_space:  global
        .offset:         8
        .size:           8
        .value_kind:     global_buffer
      - .address_space:  global
        .offset:         16
        .size:           8
        .value_kind:     global_buffer
      - .offset:         24
        .size:           4
        .value_kind:     by_value
      - .address_space:  global
        .offset:         32
        .size:           8
        .value_kind:     global_buffer
      - .offset:         40
        .size:           4
        .value_kind:     by_value
      - .address_space:  global
        .offset:         48
        .size:           8
        .value_kind:     global_buffer
      - .offset:         56
        .size:           4
        .value_kind:     by_value
      - .offset:         60
        .size:           4
        .value_kind:     by_value
      - .offset:         64
        .size:           4
        .value_kind:     by_value
      - .offset:         68
        .size:           4
        .value_kind:     by_value
      - .offset:         72
        .size:           4
        .value_kind:     by_value
      - .offset:         76
        .size:           4
        .value_kind:     by_value
      - .offset:         80
        .size:           1
        .value_kind:     by_value
      - .offset:         81
        .size:           1
        .value_kind:     by_value
      - .offset:         88
        .size:           4
        .value_kind:     hidden_block_count_x
      - .offset:         92
        .size:           4
        .value_kind:     hidden_block_count_y
      - .offset:         96
        .size:           4
        .value_kind:     hidden_block_count_z
      - .offset:         100
        .size:           2
        .value_kind:     hidden_group_size_x
      - .offset:         102
        .size:           2
        .value_kind:     hidden_group_size_y
      - .offset:         104
        .size:           2
        .value_kind:     hidden_group_size_z
      - .offset:         106
        .size:           2
        .value_kind:     hidden_remainder_x
      - .offset:         108
        .size:           2
        .value_kind:     hidden_remainder_y
      - .offset:         110
        .size:           2
        .value_kind:     hidden_remainder_z
      - .offset:         128
        .size:           8
        .value_kind:     hidden_global_offset_x
      - .offset:         136
        .size:           8
        .value_kind:     hidden_global_offset_y
      - .offset:         144
        .size:           8
        .value_kind:     hidden_global_offset_z
      - .offset:         152
        .size:           2
        .value_kind:     hidden_grid_dims
      - .offset:         168
        .size:           8
        .value_kind:     hidden_hostcall_buffer
    .group_segment_fixed_size: 0
    .kernarg_segment_align: 8
    .kernarg_segment_size: 344
    .language:       OpenCL C
    .language_version:
      - 2
      - 0
    .max_flat_workgroup_size: 1024
    .name:           Transform_H_S_001_16_16_VW_1
    .private_segment_fixed_size: 64
    .sgpr_count:     36
    .sgpr_spill_count: 0
    .symbol:         Transform_H_S_001_16_16_VW_1.kd
    .uniform_work_group_size: 1
    .uses_dynamic_stack: false
    .vgpr_count:     42
    .vgpr_spill_count: 0
    .wavefront_size: 32
    .workgroup_processor_mode: 1
  - .args:
      - .address_space:  global
        .offset:         0
        .size:           8
        .value_kind:     global_buffer
      - .address_space:  global
        .offset:         8
        .size:           8
        .value_kind:     global_buffer
      - .address_space:  global
        .offset:         16
        .size:           8
        .value_kind:     global_buffer
      - .offset:         24
        .size:           4
        .value_kind:     by_value
      - .address_space:  global
        .offset:         32
        .size:           8
        .value_kind:     global_buffer
      - .offset:         40
        .size:           4
        .value_kind:     by_value
      - .address_space:  global
        .offset:         48
        .size:           8
        .value_kind:     global_buffer
      - .offset:         56
        .size:           4
        .value_kind:     by_value
      - .offset:         60
        .size:           4
        .value_kind:     by_value
      - .offset:         64
        .size:           4
        .value_kind:     by_value
      - .offset:         68
        .size:           4
        .value_kind:     by_value
      - .offset:         72
        .size:           4
        .value_kind:     by_value
      - .offset:         76
        .size:           4
        .value_kind:     by_value
      - .offset:         80
        .size:           1
        .value_kind:     by_value
      - .offset:         81
        .size:           1
        .value_kind:     by_value
      - .offset:         88
        .size:           4
        .value_kind:     hidden_block_count_x
      - .offset:         92
        .size:           4
        .value_kind:     hidden_block_count_y
      - .offset:         96
        .size:           4
        .value_kind:     hidden_block_count_z
      - .offset:         100
        .size:           2
        .value_kind:     hidden_group_size_x
      - .offset:         102
        .size:           2
        .value_kind:     hidden_group_size_y
      - .offset:         104
        .size:           2
        .value_kind:     hidden_group_size_z
      - .offset:         106
        .size:           2
        .value_kind:     hidden_remainder_x
      - .offset:         108
        .size:           2
        .value_kind:     hidden_remainder_y
      - .offset:         110
        .size:           2
        .value_kind:     hidden_remainder_z
      - .offset:         128
        .size:           8
        .value_kind:     hidden_global_offset_x
      - .offset:         136
        .size:           8
        .value_kind:     hidden_global_offset_y
      - .offset:         144
        .size:           8
        .value_kind:     hidden_global_offset_z
      - .offset:         152
        .size:           2
        .value_kind:     hidden_grid_dims
      - .offset:         168
        .size:           8
        .value_kind:     hidden_hostcall_buffer
    .group_segment_fixed_size: 0
    .kernarg_segment_align: 8
    .kernarg_segment_size: 344
    .language:       OpenCL C
    .language_version:
      - 2
      - 0
    .max_flat_workgroup_size: 1024
    .name:           Transform_H_S_001_16_16_VW_4
    .private_segment_fixed_size: 64
    .sgpr_count:     36
    .sgpr_spill_count: 0
    .symbol:         Transform_H_S_001_16_16_VW_4.kd
    .uniform_work_group_size: 1
    .uses_dynamic_stack: false
    .vgpr_count:     42
    .vgpr_spill_count: 0
    .wavefront_size: 32
    .workgroup_processor_mode: 1
  - .args:
      - .address_space:  global
        .offset:         0
        .size:           8
        .value_kind:     global_buffer
      - .address_space:  global
        .offset:         8
        .size:           8
        .value_kind:     global_buffer
      - .address_space:  global
        .offset:         16
        .size:           8
        .value_kind:     global_buffer
      - .offset:         24
        .size:           4
        .value_kind:     by_value
      - .address_space:  global
        .offset:         32
        .size:           8
        .value_kind:     global_buffer
      - .offset:         40
        .size:           4
        .value_kind:     by_value
      - .address_space:  global
        .offset:         48
        .size:           8
        .value_kind:     global_buffer
      - .offset:         56
        .size:           4
        .value_kind:     by_value
      - .offset:         60
        .size:           4
        .value_kind:     by_value
      - .offset:         64
        .size:           4
        .value_kind:     by_value
      - .offset:         68
        .size:           4
        .value_kind:     by_value
      - .offset:         72
        .size:           4
        .value_kind:     by_value
      - .offset:         76
        .size:           4
        .value_kind:     by_value
      - .offset:         80
        .size:           1
        .value_kind:     by_value
      - .offset:         81
        .size:           1
        .value_kind:     by_value
      - .offset:         88
        .size:           4
        .value_kind:     hidden_block_count_x
      - .offset:         92
        .size:           4
        .value_kind:     hidden_block_count_y
      - .offset:         96
        .size:           4
        .value_kind:     hidden_block_count_z
      - .offset:         100
        .size:           2
        .value_kind:     hidden_group_size_x
      - .offset:         102
        .size:           2
        .value_kind:     hidden_group_size_y
      - .offset:         104
        .size:           2
        .value_kind:     hidden_group_size_z
      - .offset:         106
        .size:           2
        .value_kind:     hidden_remainder_x
      - .offset:         108
        .size:           2
        .value_kind:     hidden_remainder_y
      - .offset:         110
        .size:           2
        .value_kind:     hidden_remainder_z
      - .offset:         128
        .size:           8
        .value_kind:     hidden_global_offset_x
      - .offset:         136
        .size:           8
        .value_kind:     hidden_global_offset_y
      - .offset:         144
        .size:           8
        .value_kind:     hidden_global_offset_z
      - .offset:         152
        .size:           2
        .value_kind:     hidden_grid_dims
      - .offset:         168
        .size:           8
        .value_kind:     hidden_hostcall_buffer
    .group_segment_fixed_size: 0
    .kernarg_segment_align: 8
    .kernarg_segment_size: 344
    .language:       OpenCL C
    .language_version:
      - 2
      - 0
    .max_flat_workgroup_size: 1024
    .name:           Transform_H_S_000_16_16_VW_1
    .private_segment_fixed_size: 64
    .sgpr_count:     36
    .sgpr_spill_count: 0
    .symbol:         Transform_H_S_000_16_16_VW_1.kd
    .uniform_work_group_size: 1
    .uses_dynamic_stack: false
    .vgpr_count:     42
    .vgpr_spill_count: 0
    .wavefront_size: 32
    .workgroup_processor_mode: 1
  - .args:
      - .address_space:  global
        .offset:         0
        .size:           8
        .value_kind:     global_buffer
      - .address_space:  global
        .offset:         8
        .size:           8
        .value_kind:     global_buffer
      - .address_space:  global
        .offset:         16
        .size:           8
        .value_kind:     global_buffer
      - .offset:         24
        .size:           4
        .value_kind:     by_value
      - .address_space:  global
        .offset:         32
        .size:           8
        .value_kind:     global_buffer
      - .offset:         40
        .size:           4
        .value_kind:     by_value
      - .address_space:  global
        .offset:         48
        .size:           8
        .value_kind:     global_buffer
      - .offset:         56
        .size:           4
        .value_kind:     by_value
      - .offset:         60
        .size:           4
        .value_kind:     by_value
      - .offset:         64
        .size:           4
        .value_kind:     by_value
      - .offset:         68
        .size:           4
        .value_kind:     by_value
      - .offset:         72
        .size:           4
        .value_kind:     by_value
      - .offset:         76
        .size:           4
        .value_kind:     by_value
      - .offset:         80
        .size:           1
        .value_kind:     by_value
      - .offset:         81
        .size:           1
        .value_kind:     by_value
      - .offset:         88
        .size:           4
        .value_kind:     hidden_block_count_x
      - .offset:         92
        .size:           4
        .value_kind:     hidden_block_count_y
      - .offset:         96
        .size:           4
        .value_kind:     hidden_block_count_z
      - .offset:         100
        .size:           2
        .value_kind:     hidden_group_size_x
      - .offset:         102
        .size:           2
        .value_kind:     hidden_group_size_y
      - .offset:         104
        .size:           2
        .value_kind:     hidden_group_size_z
      - .offset:         106
        .size:           2
        .value_kind:     hidden_remainder_x
      - .offset:         108
        .size:           2
        .value_kind:     hidden_remainder_y
      - .offset:         110
        .size:           2
        .value_kind:     hidden_remainder_z
      - .offset:         128
        .size:           8
        .value_kind:     hidden_global_offset_x
      - .offset:         136
        .size:           8
        .value_kind:     hidden_global_offset_y
      - .offset:         144
        .size:           8
        .value_kind:     hidden_global_offset_z
      - .offset:         152
        .size:           2
        .value_kind:     hidden_grid_dims
      - .offset:         168
        .size:           8
        .value_kind:     hidden_hostcall_buffer
    .group_segment_fixed_size: 0
    .kernarg_segment_align: 8
    .kernarg_segment_size: 344
    .language:       OpenCL C
    .language_version:
      - 2
      - 0
    .max_flat_workgroup_size: 1024
    .name:           Transform_H_S_000_16_16_VW_4
    .private_segment_fixed_size: 64
    .sgpr_count:     36
    .sgpr_spill_count: 0
    .symbol:         Transform_H_S_000_16_16_VW_4.kd
    .uniform_work_group_size: 1
    .uses_dynamic_stack: false
    .vgpr_count:     42
    .vgpr_spill_count: 0
    .wavefront_size: 32
    .workgroup_processor_mode: 1
  - .args:
      - .address_space:  global
        .offset:         0
        .size:           8
        .value_kind:     global_buffer
      - .address_space:  global
        .offset:         8
        .size:           8
        .value_kind:     global_buffer
      - .address_space:  global
        .offset:         16
        .size:           8
        .value_kind:     global_buffer
      - .offset:         24
        .size:           4
        .value_kind:     by_value
      - .address_space:  global
        .offset:         32
        .size:           8
        .value_kind:     global_buffer
      - .offset:         40
        .size:           4
        .value_kind:     by_value
      - .address_space:  global
        .offset:         48
        .size:           8
        .value_kind:     global_buffer
      - .offset:         56
        .size:           4
        .value_kind:     by_value
      - .offset:         60
        .size:           4
        .value_kind:     by_value
      - .offset:         64
        .size:           4
        .value_kind:     by_value
      - .offset:         68
        .size:           4
        .value_kind:     by_value
      - .offset:         72
        .size:           4
        .value_kind:     by_value
      - .offset:         76
        .size:           4
        .value_kind:     by_value
      - .offset:         80
        .size:           1
        .value_kind:     by_value
      - .offset:         81
        .size:           1
        .value_kind:     by_value
      - .offset:         88
        .size:           4
        .value_kind:     hidden_block_count_x
      - .offset:         92
        .size:           4
        .value_kind:     hidden_block_count_y
      - .offset:         96
        .size:           4
        .value_kind:     hidden_block_count_z
      - .offset:         100
        .size:           2
        .value_kind:     hidden_group_size_x
      - .offset:         102
        .size:           2
        .value_kind:     hidden_group_size_y
      - .offset:         104
        .size:           2
        .value_kind:     hidden_group_size_z
      - .offset:         106
        .size:           2
        .value_kind:     hidden_remainder_x
      - .offset:         108
        .size:           2
        .value_kind:     hidden_remainder_y
      - .offset:         110
        .size:           2
        .value_kind:     hidden_remainder_z
      - .offset:         128
        .size:           8
        .value_kind:     hidden_global_offset_x
      - .offset:         136
        .size:           8
        .value_kind:     hidden_global_offset_y
      - .offset:         144
        .size:           8
        .value_kind:     hidden_global_offset_z
      - .offset:         152
        .size:           2
        .value_kind:     hidden_grid_dims
      - .offset:         168
        .size:           8
        .value_kind:     hidden_hostcall_buffer
    .group_segment_fixed_size: 0
    .kernarg_segment_align: 8
    .kernarg_segment_size: 344
    .language:       OpenCL C
    .language_version:
      - 2
      - 0
    .max_flat_workgroup_size: 1024
    .name:           Transform_BF16_S_111_16_16_VW_1
    .private_segment_fixed_size: 64
    .sgpr_count:     36
    .sgpr_spill_count: 0
    .symbol:         Transform_BF16_S_111_16_16_VW_1.kd
    .uniform_work_group_size: 1
    .uses_dynamic_stack: false
    .vgpr_count:     42
    .vgpr_spill_count: 0
    .wavefront_size: 32
    .workgroup_processor_mode: 1
  - .args:
      - .address_space:  global
        .offset:         0
        .size:           8
        .value_kind:     global_buffer
      - .address_space:  global
        .offset:         8
        .size:           8
        .value_kind:     global_buffer
      - .address_space:  global
        .offset:         16
        .size:           8
        .value_kind:     global_buffer
      - .offset:         24
        .size:           4
        .value_kind:     by_value
      - .address_space:  global
        .offset:         32
        .size:           8
        .value_kind:     global_buffer
      - .offset:         40
        .size:           4
        .value_kind:     by_value
      - .address_space:  global
        .offset:         48
        .size:           8
        .value_kind:     global_buffer
      - .offset:         56
        .size:           4
        .value_kind:     by_value
      - .offset:         60
        .size:           4
        .value_kind:     by_value
      - .offset:         64
        .size:           4
        .value_kind:     by_value
      - .offset:         68
        .size:           4
        .value_kind:     by_value
      - .offset:         72
        .size:           4
        .value_kind:     by_value
      - .offset:         76
        .size:           4
        .value_kind:     by_value
      - .offset:         80
        .size:           1
        .value_kind:     by_value
      - .offset:         81
        .size:           1
        .value_kind:     by_value
      - .offset:         88
        .size:           4
        .value_kind:     hidden_block_count_x
      - .offset:         92
        .size:           4
        .value_kind:     hidden_block_count_y
      - .offset:         96
        .size:           4
        .value_kind:     hidden_block_count_z
      - .offset:         100
        .size:           2
        .value_kind:     hidden_group_size_x
      - .offset:         102
        .size:           2
        .value_kind:     hidden_group_size_y
      - .offset:         104
        .size:           2
        .value_kind:     hidden_group_size_z
      - .offset:         106
        .size:           2
        .value_kind:     hidden_remainder_x
      - .offset:         108
        .size:           2
        .value_kind:     hidden_remainder_y
      - .offset:         110
        .size:           2
        .value_kind:     hidden_remainder_z
      - .offset:         128
        .size:           8
        .value_kind:     hidden_global_offset_x
      - .offset:         136
        .size:           8
        .value_kind:     hidden_global_offset_y
      - .offset:         144
        .size:           8
        .value_kind:     hidden_global_offset_z
      - .offset:         152
        .size:           2
        .value_kind:     hidden_grid_dims
      - .offset:         168
        .size:           8
        .value_kind:     hidden_hostcall_buffer
    .group_segment_fixed_size: 8192
    .kernarg_segment_align: 8
    .kernarg_segment_size: 344
    .language:       OpenCL C
    .language_version:
      - 2
      - 0
    .max_flat_workgroup_size: 1024
    .name:           Transform_BF16_S_111_16_16_VW_4
    .private_segment_fixed_size: 64
    .sgpr_count:     36
    .sgpr_spill_count: 0
    .symbol:         Transform_BF16_S_111_16_16_VW_4.kd
    .uniform_work_group_size: 1
    .uses_dynamic_stack: false
    .vgpr_count:     42
    .vgpr_spill_count: 0
    .wavefront_size: 32
    .workgroup_processor_mode: 1
  - .args:
      - .address_space:  global
        .offset:         0
        .size:           8
        .value_kind:     global_buffer
      - .address_space:  global
        .offset:         8
        .size:           8
        .value_kind:     global_buffer
      - .address_space:  global
        .offset:         16
        .size:           8
        .value_kind:     global_buffer
      - .offset:         24
        .size:           4
        .value_kind:     by_value
      - .address_space:  global
        .offset:         32
        .size:           8
        .value_kind:     global_buffer
      - .offset:         40
        .size:           4
        .value_kind:     by_value
      - .address_space:  global
        .offset:         48
        .size:           8
        .value_kind:     global_buffer
      - .offset:         56
        .size:           4
        .value_kind:     by_value
      - .offset:         60
        .size:           4
        .value_kind:     by_value
      - .offset:         64
        .size:           4
        .value_kind:     by_value
      - .offset:         68
        .size:           4
        .value_kind:     by_value
      - .offset:         72
        .size:           4
        .value_kind:     by_value
      - .offset:         76
        .size:           4
        .value_kind:     by_value
      - .offset:         80
        .size:           1
        .value_kind:     by_value
      - .offset:         81
        .size:           1
        .value_kind:     by_value
      - .offset:         88
        .size:           4
        .value_kind:     hidden_block_count_x
      - .offset:         92
        .size:           4
        .value_kind:     hidden_block_count_y
      - .offset:         96
        .size:           4
        .value_kind:     hidden_block_count_z
      - .offset:         100
        .size:           2
        .value_kind:     hidden_group_size_x
      - .offset:         102
        .size:           2
        .value_kind:     hidden_group_size_y
      - .offset:         104
        .size:           2
        .value_kind:     hidden_group_size_z
      - .offset:         106
        .size:           2
        .value_kind:     hidden_remainder_x
      - .offset:         108
        .size:           2
        .value_kind:     hidden_remainder_y
      - .offset:         110
        .size:           2
        .value_kind:     hidden_remainder_z
      - .offset:         128
        .size:           8
        .value_kind:     hidden_global_offset_x
      - .offset:         136
        .size:           8
        .value_kind:     hidden_global_offset_y
      - .offset:         144
        .size:           8
        .value_kind:     hidden_global_offset_z
      - .offset:         152
        .size:           2
        .value_kind:     hidden_grid_dims
      - .offset:         168
        .size:           8
        .value_kind:     hidden_hostcall_buffer
    .group_segment_fixed_size: 0
    .kernarg_segment_align: 8
    .kernarg_segment_size: 344
    .language:       OpenCL C
    .language_version:
      - 2
      - 0
    .max_flat_workgroup_size: 1024
    .name:           Transform_BF16_S_110_16_16_VW_1
    .private_segment_fixed_size: 64
    .sgpr_count:     36
    .sgpr_spill_count: 0
    .symbol:         Transform_BF16_S_110_16_16_VW_1.kd
    .uniform_work_group_size: 1
    .uses_dynamic_stack: false
    .vgpr_count:     42
    .vgpr_spill_count: 0
    .wavefront_size: 32
    .workgroup_processor_mode: 1
  - .args:
      - .address_space:  global
        .offset:         0
        .size:           8
        .value_kind:     global_buffer
      - .address_space:  global
        .offset:         8
        .size:           8
        .value_kind:     global_buffer
      - .address_space:  global
        .offset:         16
        .size:           8
        .value_kind:     global_buffer
      - .offset:         24
        .size:           4
        .value_kind:     by_value
      - .address_space:  global
        .offset:         32
        .size:           8
        .value_kind:     global_buffer
      - .offset:         40
        .size:           4
        .value_kind:     by_value
      - .address_space:  global
        .offset:         48
        .size:           8
        .value_kind:     global_buffer
      - .offset:         56
        .size:           4
        .value_kind:     by_value
      - .offset:         60
        .size:           4
        .value_kind:     by_value
      - .offset:         64
        .size:           4
        .value_kind:     by_value
      - .offset:         68
        .size:           4
        .value_kind:     by_value
      - .offset:         72
        .size:           4
        .value_kind:     by_value
      - .offset:         76
        .size:           4
        .value_kind:     by_value
      - .offset:         80
        .size:           1
        .value_kind:     by_value
      - .offset:         81
        .size:           1
        .value_kind:     by_value
      - .offset:         88
        .size:           4
        .value_kind:     hidden_block_count_x
      - .offset:         92
        .size:           4
        .value_kind:     hidden_block_count_y
      - .offset:         96
        .size:           4
        .value_kind:     hidden_block_count_z
      - .offset:         100
        .size:           2
        .value_kind:     hidden_group_size_x
      - .offset:         102
        .size:           2
        .value_kind:     hidden_group_size_y
      - .offset:         104
        .size:           2
        .value_kind:     hidden_group_size_z
      - .offset:         106
        .size:           2
        .value_kind:     hidden_remainder_x
      - .offset:         108
        .size:           2
        .value_kind:     hidden_remainder_y
      - .offset:         110
        .size:           2
        .value_kind:     hidden_remainder_z
      - .offset:         128
        .size:           8
        .value_kind:     hidden_global_offset_x
      - .offset:         136
        .size:           8
        .value_kind:     hidden_global_offset_y
      - .offset:         144
        .size:           8
        .value_kind:     hidden_global_offset_z
      - .offset:         152
        .size:           2
        .value_kind:     hidden_grid_dims
      - .offset:         168
        .size:           8
        .value_kind:     hidden_hostcall_buffer
    .group_segment_fixed_size: 8192
    .kernarg_segment_align: 8
    .kernarg_segment_size: 344
    .language:       OpenCL C
    .language_version:
      - 2
      - 0
    .max_flat_workgroup_size: 1024
    .name:           Transform_BF16_S_110_16_16_VW_4
    .private_segment_fixed_size: 64
    .sgpr_count:     36
    .sgpr_spill_count: 0
    .symbol:         Transform_BF16_S_110_16_16_VW_4.kd
    .uniform_work_group_size: 1
    .uses_dynamic_stack: false
    .vgpr_count:     42
    .vgpr_spill_count: 0
    .wavefront_size: 32
    .workgroup_processor_mode: 1
  - .args:
      - .address_space:  global
        .offset:         0
        .size:           8
        .value_kind:     global_buffer
      - .address_space:  global
        .offset:         8
        .size:           8
        .value_kind:     global_buffer
      - .address_space:  global
        .offset:         16
        .size:           8
        .value_kind:     global_buffer
      - .offset:         24
        .size:           4
        .value_kind:     by_value
      - .address_space:  global
        .offset:         32
        .size:           8
        .value_kind:     global_buffer
      - .offset:         40
        .size:           4
        .value_kind:     by_value
      - .address_space:  global
        .offset:         48
        .size:           8
        .value_kind:     global_buffer
      - .offset:         56
        .size:           4
        .value_kind:     by_value
      - .offset:         60
        .size:           4
        .value_kind:     by_value
      - .offset:         64
        .size:           4
        .value_kind:     by_value
      - .offset:         68
        .size:           4
        .value_kind:     by_value
      - .offset:         72
        .size:           4
        .value_kind:     by_value
      - .offset:         76
        .size:           4
        .value_kind:     by_value
      - .offset:         80
        .size:           1
        .value_kind:     by_value
      - .offset:         81
        .size:           1
        .value_kind:     by_value
      - .offset:         88
        .size:           4
        .value_kind:     hidden_block_count_x
      - .offset:         92
        .size:           4
        .value_kind:     hidden_block_count_y
      - .offset:         96
        .size:           4
        .value_kind:     hidden_block_count_z
      - .offset:         100
        .size:           2
        .value_kind:     hidden_group_size_x
      - .offset:         102
        .size:           2
        .value_kind:     hidden_group_size_y
      - .offset:         104
        .size:           2
        .value_kind:     hidden_group_size_z
      - .offset:         106
        .size:           2
        .value_kind:     hidden_remainder_x
      - .offset:         108
        .size:           2
        .value_kind:     hidden_remainder_y
      - .offset:         110
        .size:           2
        .value_kind:     hidden_remainder_z
      - .offset:         128
        .size:           8
        .value_kind:     hidden_global_offset_x
      - .offset:         136
        .size:           8
        .value_kind:     hidden_global_offset_y
      - .offset:         144
        .size:           8
        .value_kind:     hidden_global_offset_z
      - .offset:         152
        .size:           2
        .value_kind:     hidden_grid_dims
      - .offset:         168
        .size:           8
        .value_kind:     hidden_hostcall_buffer
    .group_segment_fixed_size: 0
    .kernarg_segment_align: 8
    .kernarg_segment_size: 344
    .language:       OpenCL C
    .language_version:
      - 2
      - 0
    .max_flat_workgroup_size: 1024
    .name:           Transform_BF16_S_101_16_16_VW_1
    .private_segment_fixed_size: 64
    .sgpr_count:     36
    .sgpr_spill_count: 0
    .symbol:         Transform_BF16_S_101_16_16_VW_1.kd
    .uniform_work_group_size: 1
    .uses_dynamic_stack: false
    .vgpr_count:     42
    .vgpr_spill_count: 0
    .wavefront_size: 32
    .workgroup_processor_mode: 1
  - .args:
      - .address_space:  global
        .offset:         0
        .size:           8
        .value_kind:     global_buffer
      - .address_space:  global
        .offset:         8
        .size:           8
        .value_kind:     global_buffer
      - .address_space:  global
        .offset:         16
        .size:           8
        .value_kind:     global_buffer
      - .offset:         24
        .size:           4
        .value_kind:     by_value
      - .address_space:  global
        .offset:         32
        .size:           8
        .value_kind:     global_buffer
      - .offset:         40
        .size:           4
        .value_kind:     by_value
      - .address_space:  global
        .offset:         48
        .size:           8
        .value_kind:     global_buffer
      - .offset:         56
        .size:           4
        .value_kind:     by_value
      - .offset:         60
        .size:           4
        .value_kind:     by_value
      - .offset:         64
        .size:           4
        .value_kind:     by_value
      - .offset:         68
        .size:           4
        .value_kind:     by_value
      - .offset:         72
        .size:           4
        .value_kind:     by_value
      - .offset:         76
        .size:           4
        .value_kind:     by_value
      - .offset:         80
        .size:           1
        .value_kind:     by_value
      - .offset:         81
        .size:           1
        .value_kind:     by_value
      - .offset:         88
        .size:           4
        .value_kind:     hidden_block_count_x
      - .offset:         92
        .size:           4
        .value_kind:     hidden_block_count_y
      - .offset:         96
        .size:           4
        .value_kind:     hidden_block_count_z
      - .offset:         100
        .size:           2
        .value_kind:     hidden_group_size_x
      - .offset:         102
        .size:           2
        .value_kind:     hidden_group_size_y
      - .offset:         104
        .size:           2
        .value_kind:     hidden_group_size_z
      - .offset:         106
        .size:           2
        .value_kind:     hidden_remainder_x
      - .offset:         108
        .size:           2
        .value_kind:     hidden_remainder_y
      - .offset:         110
        .size:           2
        .value_kind:     hidden_remainder_z
      - .offset:         128
        .size:           8
        .value_kind:     hidden_global_offset_x
      - .offset:         136
        .size:           8
        .value_kind:     hidden_global_offset_y
      - .offset:         144
        .size:           8
        .value_kind:     hidden_global_offset_z
      - .offset:         152
        .size:           2
        .value_kind:     hidden_grid_dims
      - .offset:         168
        .size:           8
        .value_kind:     hidden_hostcall_buffer
    .group_segment_fixed_size: 8192
    .kernarg_segment_align: 8
    .kernarg_segment_size: 344
    .language:       OpenCL C
    .language_version:
      - 2
      - 0
    .max_flat_workgroup_size: 1024
    .name:           Transform_BF16_S_101_16_16_VW_4
    .private_segment_fixed_size: 64
    .sgpr_count:     36
    .sgpr_spill_count: 0
    .symbol:         Transform_BF16_S_101_16_16_VW_4.kd
    .uniform_work_group_size: 1
    .uses_dynamic_stack: false
    .vgpr_count:     42
    .vgpr_spill_count: 0
    .wavefront_size: 32
    .workgroup_processor_mode: 1
  - .args:
      - .address_space:  global
        .offset:         0
        .size:           8
        .value_kind:     global_buffer
      - .address_space:  global
        .offset:         8
        .size:           8
        .value_kind:     global_buffer
      - .address_space:  global
        .offset:         16
        .size:           8
        .value_kind:     global_buffer
      - .offset:         24
        .size:           4
        .value_kind:     by_value
      - .address_space:  global
        .offset:         32
        .size:           8
        .value_kind:     global_buffer
      - .offset:         40
        .size:           4
        .value_kind:     by_value
      - .address_space:  global
        .offset:         48
        .size:           8
        .value_kind:     global_buffer
      - .offset:         56
        .size:           4
        .value_kind:     by_value
      - .offset:         60
        .size:           4
        .value_kind:     by_value
      - .offset:         64
        .size:           4
        .value_kind:     by_value
      - .offset:         68
        .size:           4
        .value_kind:     by_value
      - .offset:         72
        .size:           4
        .value_kind:     by_value
      - .offset:         76
        .size:           4
        .value_kind:     by_value
      - .offset:         80
        .size:           1
        .value_kind:     by_value
      - .offset:         81
        .size:           1
        .value_kind:     by_value
      - .offset:         88
        .size:           4
        .value_kind:     hidden_block_count_x
      - .offset:         92
        .size:           4
        .value_kind:     hidden_block_count_y
      - .offset:         96
        .size:           4
        .value_kind:     hidden_block_count_z
      - .offset:         100
        .size:           2
        .value_kind:     hidden_group_size_x
      - .offset:         102
        .size:           2
        .value_kind:     hidden_group_size_y
      - .offset:         104
        .size:           2
        .value_kind:     hidden_group_size_z
      - .offset:         106
        .size:           2
        .value_kind:     hidden_remainder_x
      - .offset:         108
        .size:           2
        .value_kind:     hidden_remainder_y
      - .offset:         110
        .size:           2
        .value_kind:     hidden_remainder_z
      - .offset:         128
        .size:           8
        .value_kind:     hidden_global_offset_x
      - .offset:         136
        .size:           8
        .value_kind:     hidden_global_offset_y
      - .offset:         144
        .size:           8
        .value_kind:     hidden_global_offset_z
      - .offset:         152
        .size:           2
        .value_kind:     hidden_grid_dims
      - .offset:         168
        .size:           8
        .value_kind:     hidden_hostcall_buffer
    .group_segment_fixed_size: 0
    .kernarg_segment_align: 8
    .kernarg_segment_size: 344
    .language:       OpenCL C
    .language_version:
      - 2
      - 0
    .max_flat_workgroup_size: 1024
    .name:           Transform_BF16_S_100_16_16_VW_1
    .private_segment_fixed_size: 64
    .sgpr_count:     36
    .sgpr_spill_count: 0
    .symbol:         Transform_BF16_S_100_16_16_VW_1.kd
    .uniform_work_group_size: 1
    .uses_dynamic_stack: false
    .vgpr_count:     42
    .vgpr_spill_count: 0
    .wavefront_size: 32
    .workgroup_processor_mode: 1
  - .args:
      - .address_space:  global
        .offset:         0
        .size:           8
        .value_kind:     global_buffer
      - .address_space:  global
        .offset:         8
        .size:           8
        .value_kind:     global_buffer
      - .address_space:  global
        .offset:         16
        .size:           8
        .value_kind:     global_buffer
      - .offset:         24
        .size:           4
        .value_kind:     by_value
      - .address_space:  global
        .offset:         32
        .size:           8
        .value_kind:     global_buffer
      - .offset:         40
        .size:           4
        .value_kind:     by_value
      - .address_space:  global
        .offset:         48
        .size:           8
        .value_kind:     global_buffer
      - .offset:         56
        .size:           4
        .value_kind:     by_value
      - .offset:         60
        .size:           4
        .value_kind:     by_value
      - .offset:         64
        .size:           4
        .value_kind:     by_value
      - .offset:         68
        .size:           4
        .value_kind:     by_value
      - .offset:         72
        .size:           4
        .value_kind:     by_value
      - .offset:         76
        .size:           4
        .value_kind:     by_value
      - .offset:         80
        .size:           1
        .value_kind:     by_value
      - .offset:         81
        .size:           1
        .value_kind:     by_value
      - .offset:         88
        .size:           4
        .value_kind:     hidden_block_count_x
      - .offset:         92
        .size:           4
        .value_kind:     hidden_block_count_y
      - .offset:         96
        .size:           4
        .value_kind:     hidden_block_count_z
      - .offset:         100
        .size:           2
        .value_kind:     hidden_group_size_x
      - .offset:         102
        .size:           2
        .value_kind:     hidden_group_size_y
      - .offset:         104
        .size:           2
        .value_kind:     hidden_group_size_z
      - .offset:         106
        .size:           2
        .value_kind:     hidden_remainder_x
      - .offset:         108
        .size:           2
        .value_kind:     hidden_remainder_y
      - .offset:         110
        .size:           2
        .value_kind:     hidden_remainder_z
      - .offset:         128
        .size:           8
        .value_kind:     hidden_global_offset_x
      - .offset:         136
        .size:           8
        .value_kind:     hidden_global_offset_y
      - .offset:         144
        .size:           8
        .value_kind:     hidden_global_offset_z
      - .offset:         152
        .size:           2
        .value_kind:     hidden_grid_dims
      - .offset:         168
        .size:           8
        .value_kind:     hidden_hostcall_buffer
    .group_segment_fixed_size: 8192
    .kernarg_segment_align: 8
    .kernarg_segment_size: 344
    .language:       OpenCL C
    .language_version:
      - 2
      - 0
    .max_flat_workgroup_size: 1024
    .name:           Transform_BF16_S_100_16_16_VW_4
    .private_segment_fixed_size: 64
    .sgpr_count:     36
    .sgpr_spill_count: 0
    .symbol:         Transform_BF16_S_100_16_16_VW_4.kd
    .uniform_work_group_size: 1
    .uses_dynamic_stack: false
    .vgpr_count:     42
    .vgpr_spill_count: 0
    .wavefront_size: 32
    .workgroup_processor_mode: 1
  - .args:
      - .address_space:  global
        .offset:         0
        .size:           8
        .value_kind:     global_buffer
      - .address_space:  global
        .offset:         8
        .size:           8
        .value_kind:     global_buffer
      - .address_space:  global
        .offset:         16
        .size:           8
        .value_kind:     global_buffer
      - .offset:         24
        .size:           4
        .value_kind:     by_value
      - .address_space:  global
        .offset:         32
        .size:           8
        .value_kind:     global_buffer
      - .offset:         40
        .size:           4
        .value_kind:     by_value
      - .address_space:  global
        .offset:         48
        .size:           8
        .value_kind:     global_buffer
      - .offset:         56
        .size:           4
        .value_kind:     by_value
      - .offset:         60
        .size:           4
        .value_kind:     by_value
      - .offset:         64
        .size:           4
        .value_kind:     by_value
      - .offset:         68
        .size:           4
        .value_kind:     by_value
      - .offset:         72
        .size:           4
        .value_kind:     by_value
      - .offset:         76
        .size:           4
        .value_kind:     by_value
      - .offset:         80
        .size:           1
        .value_kind:     by_value
      - .offset:         81
        .size:           1
        .value_kind:     by_value
      - .offset:         88
        .size:           4
        .value_kind:     hidden_block_count_x
      - .offset:         92
        .size:           4
        .value_kind:     hidden_block_count_y
      - .offset:         96
        .size:           4
        .value_kind:     hidden_block_count_z
      - .offset:         100
        .size:           2
        .value_kind:     hidden_group_size_x
      - .offset:         102
        .size:           2
        .value_kind:     hidden_group_size_y
      - .offset:         104
        .size:           2
        .value_kind:     hidden_group_size_z
      - .offset:         106
        .size:           2
        .value_kind:     hidden_remainder_x
      - .offset:         108
        .size:           2
        .value_kind:     hidden_remainder_y
      - .offset:         110
        .size:           2
        .value_kind:     hidden_remainder_z
      - .offset:         128
        .size:           8
        .value_kind:     hidden_global_offset_x
      - .offset:         136
        .size:           8
        .value_kind:     hidden_global_offset_y
      - .offset:         144
        .size:           8
        .value_kind:     hidden_global_offset_z
      - .offset:         152
        .size:           2
        .value_kind:     hidden_grid_dims
      - .offset:         168
        .size:           8
        .value_kind:     hidden_hostcall_buffer
    .group_segment_fixed_size: 0
    .kernarg_segment_align: 8
    .kernarg_segment_size: 344
    .language:       OpenCL C
    .language_version:
      - 2
      - 0
    .max_flat_workgroup_size: 1024
    .name:           Transform_BF16_S_011_16_16_VW_1
    .private_segment_fixed_size: 64
    .sgpr_count:     36
    .sgpr_spill_count: 0
    .symbol:         Transform_BF16_S_011_16_16_VW_1.kd
    .uniform_work_group_size: 1
    .uses_dynamic_stack: false
    .vgpr_count:     42
    .vgpr_spill_count: 0
    .wavefront_size: 32
    .workgroup_processor_mode: 1
  - .args:
      - .address_space:  global
        .offset:         0
        .size:           8
        .value_kind:     global_buffer
      - .address_space:  global
        .offset:         8
        .size:           8
        .value_kind:     global_buffer
      - .address_space:  global
        .offset:         16
        .size:           8
        .value_kind:     global_buffer
      - .offset:         24
        .size:           4
        .value_kind:     by_value
      - .address_space:  global
        .offset:         32
        .size:           8
        .value_kind:     global_buffer
      - .offset:         40
        .size:           4
        .value_kind:     by_value
      - .address_space:  global
        .offset:         48
        .size:           8
        .value_kind:     global_buffer
      - .offset:         56
        .size:           4
        .value_kind:     by_value
      - .offset:         60
        .size:           4
        .value_kind:     by_value
      - .offset:         64
        .size:           4
        .value_kind:     by_value
      - .offset:         68
        .size:           4
        .value_kind:     by_value
      - .offset:         72
        .size:           4
        .value_kind:     by_value
      - .offset:         76
        .size:           4
        .value_kind:     by_value
      - .offset:         80
        .size:           1
        .value_kind:     by_value
      - .offset:         81
        .size:           1
        .value_kind:     by_value
      - .offset:         88
        .size:           4
        .value_kind:     hidden_block_count_x
      - .offset:         92
        .size:           4
        .value_kind:     hidden_block_count_y
      - .offset:         96
        .size:           4
        .value_kind:     hidden_block_count_z
      - .offset:         100
        .size:           2
        .value_kind:     hidden_group_size_x
      - .offset:         102
        .size:           2
        .value_kind:     hidden_group_size_y
      - .offset:         104
        .size:           2
        .value_kind:     hidden_group_size_z
      - .offset:         106
        .size:           2
        .value_kind:     hidden_remainder_x
      - .offset:         108
        .size:           2
        .value_kind:     hidden_remainder_y
      - .offset:         110
        .size:           2
        .value_kind:     hidden_remainder_z
      - .offset:         128
        .size:           8
        .value_kind:     hidden_global_offset_x
      - .offset:         136
        .size:           8
        .value_kind:     hidden_global_offset_y
      - .offset:         144
        .size:           8
        .value_kind:     hidden_global_offset_z
      - .offset:         152
        .size:           2
        .value_kind:     hidden_grid_dims
      - .offset:         168
        .size:           8
        .value_kind:     hidden_hostcall_buffer
    .group_segment_fixed_size: 8192
    .kernarg_segment_align: 8
    .kernarg_segment_size: 344
    .language:       OpenCL C
    .language_version:
      - 2
      - 0
    .max_flat_workgroup_size: 1024
    .name:           Transform_BF16_S_011_16_16_VW_4
    .private_segment_fixed_size: 64
    .sgpr_count:     36
    .sgpr_spill_count: 0
    .symbol:         Transform_BF16_S_011_16_16_VW_4.kd
    .uniform_work_group_size: 1
    .uses_dynamic_stack: false
    .vgpr_count:     42
    .vgpr_spill_count: 0
    .wavefront_size: 32
    .workgroup_processor_mode: 1
  - .args:
      - .address_space:  global
        .offset:         0
        .size:           8
        .value_kind:     global_buffer
      - .address_space:  global
        .offset:         8
        .size:           8
        .value_kind:     global_buffer
      - .address_space:  global
        .offset:         16
        .size:           8
        .value_kind:     global_buffer
      - .offset:         24
        .size:           4
        .value_kind:     by_value
      - .address_space:  global
        .offset:         32
        .size:           8
        .value_kind:     global_buffer
      - .offset:         40
        .size:           4
        .value_kind:     by_value
      - .address_space:  global
        .offset:         48
        .size:           8
        .value_kind:     global_buffer
      - .offset:         56
        .size:           4
        .value_kind:     by_value
      - .offset:         60
        .size:           4
        .value_kind:     by_value
      - .offset:         64
        .size:           4
        .value_kind:     by_value
      - .offset:         68
        .size:           4
        .value_kind:     by_value
      - .offset:         72
        .size:           4
        .value_kind:     by_value
      - .offset:         76
        .size:           4
        .value_kind:     by_value
      - .offset:         80
        .size:           1
        .value_kind:     by_value
      - .offset:         81
        .size:           1
        .value_kind:     by_value
      - .offset:         88
        .size:           4
        .value_kind:     hidden_block_count_x
      - .offset:         92
        .size:           4
        .value_kind:     hidden_block_count_y
      - .offset:         96
        .size:           4
        .value_kind:     hidden_block_count_z
      - .offset:         100
        .size:           2
        .value_kind:     hidden_group_size_x
      - .offset:         102
        .size:           2
        .value_kind:     hidden_group_size_y
      - .offset:         104
        .size:           2
        .value_kind:     hidden_group_size_z
      - .offset:         106
        .size:           2
        .value_kind:     hidden_remainder_x
      - .offset:         108
        .size:           2
        .value_kind:     hidden_remainder_y
      - .offset:         110
        .size:           2
        .value_kind:     hidden_remainder_z
      - .offset:         128
        .size:           8
        .value_kind:     hidden_global_offset_x
      - .offset:         136
        .size:           8
        .value_kind:     hidden_global_offset_y
      - .offset:         144
        .size:           8
        .value_kind:     hidden_global_offset_z
      - .offset:         152
        .size:           2
        .value_kind:     hidden_grid_dims
      - .offset:         168
        .size:           8
        .value_kind:     hidden_hostcall_buffer
    .group_segment_fixed_size: 0
    .kernarg_segment_align: 8
    .kernarg_segment_size: 344
    .language:       OpenCL C
    .language_version:
      - 2
      - 0
    .max_flat_workgroup_size: 1024
    .name:           Transform_BF16_S_010_16_16_VW_1
    .private_segment_fixed_size: 64
    .sgpr_count:     36
    .sgpr_spill_count: 0
    .symbol:         Transform_BF16_S_010_16_16_VW_1.kd
    .uniform_work_group_size: 1
    .uses_dynamic_stack: false
    .vgpr_count:     42
    .vgpr_spill_count: 0
    .wavefront_size: 32
    .workgroup_processor_mode: 1
  - .args:
      - .address_space:  global
        .offset:         0
        .size:           8
        .value_kind:     global_buffer
      - .address_space:  global
        .offset:         8
        .size:           8
        .value_kind:     global_buffer
      - .address_space:  global
        .offset:         16
        .size:           8
        .value_kind:     global_buffer
      - .offset:         24
        .size:           4
        .value_kind:     by_value
      - .address_space:  global
        .offset:         32
        .size:           8
        .value_kind:     global_buffer
      - .offset:         40
        .size:           4
        .value_kind:     by_value
      - .address_space:  global
        .offset:         48
        .size:           8
        .value_kind:     global_buffer
      - .offset:         56
        .size:           4
        .value_kind:     by_value
      - .offset:         60
        .size:           4
        .value_kind:     by_value
      - .offset:         64
        .size:           4
        .value_kind:     by_value
      - .offset:         68
        .size:           4
        .value_kind:     by_value
      - .offset:         72
        .size:           4
        .value_kind:     by_value
      - .offset:         76
        .size:           4
        .value_kind:     by_value
      - .offset:         80
        .size:           1
        .value_kind:     by_value
      - .offset:         81
        .size:           1
        .value_kind:     by_value
      - .offset:         88
        .size:           4
        .value_kind:     hidden_block_count_x
      - .offset:         92
        .size:           4
        .value_kind:     hidden_block_count_y
      - .offset:         96
        .size:           4
        .value_kind:     hidden_block_count_z
      - .offset:         100
        .size:           2
        .value_kind:     hidden_group_size_x
      - .offset:         102
        .size:           2
        .value_kind:     hidden_group_size_y
      - .offset:         104
        .size:           2
        .value_kind:     hidden_group_size_z
      - .offset:         106
        .size:           2
        .value_kind:     hidden_remainder_x
      - .offset:         108
        .size:           2
        .value_kind:     hidden_remainder_y
      - .offset:         110
        .size:           2
        .value_kind:     hidden_remainder_z
      - .offset:         128
        .size:           8
        .value_kind:     hidden_global_offset_x
      - .offset:         136
        .size:           8
        .value_kind:     hidden_global_offset_y
      - .offset:         144
        .size:           8
        .value_kind:     hidden_global_offset_z
      - .offset:         152
        .size:           2
        .value_kind:     hidden_grid_dims
      - .offset:         168
        .size:           8
        .value_kind:     hidden_hostcall_buffer
    .group_segment_fixed_size: 8192
    .kernarg_segment_align: 8
    .kernarg_segment_size: 344
    .language:       OpenCL C
    .language_version:
      - 2
      - 0
    .max_flat_workgroup_size: 1024
    .name:           Transform_BF16_S_010_16_16_VW_4
    .private_segment_fixed_size: 64
    .sgpr_count:     36
    .sgpr_spill_count: 0
    .symbol:         Transform_BF16_S_010_16_16_VW_4.kd
    .uniform_work_group_size: 1
    .uses_dynamic_stack: false
    .vgpr_count:     42
    .vgpr_spill_count: 0
    .wavefront_size: 32
    .workgroup_processor_mode: 1
  - .args:
      - .address_space:  global
        .offset:         0
        .size:           8
        .value_kind:     global_buffer
      - .address_space:  global
        .offset:         8
        .size:           8
        .value_kind:     global_buffer
      - .address_space:  global
        .offset:         16
        .size:           8
        .value_kind:     global_buffer
      - .offset:         24
        .size:           4
        .value_kind:     by_value
      - .address_space:  global
        .offset:         32
        .size:           8
        .value_kind:     global_buffer
      - .offset:         40
        .size:           4
        .value_kind:     by_value
      - .address_space:  global
        .offset:         48
        .size:           8
        .value_kind:     global_buffer
      - .offset:         56
        .size:           4
        .value_kind:     by_value
      - .offset:         60
        .size:           4
        .value_kind:     by_value
      - .offset:         64
        .size:           4
        .value_kind:     by_value
      - .offset:         68
        .size:           4
        .value_kind:     by_value
      - .offset:         72
        .size:           4
        .value_kind:     by_value
      - .offset:         76
        .size:           4
        .value_kind:     by_value
      - .offset:         80
        .size:           1
        .value_kind:     by_value
      - .offset:         81
        .size:           1
        .value_kind:     by_value
      - .offset:         88
        .size:           4
        .value_kind:     hidden_block_count_x
      - .offset:         92
        .size:           4
        .value_kind:     hidden_block_count_y
      - .offset:         96
        .size:           4
        .value_kind:     hidden_block_count_z
      - .offset:         100
        .size:           2
        .value_kind:     hidden_group_size_x
      - .offset:         102
        .size:           2
        .value_kind:     hidden_group_size_y
      - .offset:         104
        .size:           2
        .value_kind:     hidden_group_size_z
      - .offset:         106
        .size:           2
        .value_kind:     hidden_remainder_x
      - .offset:         108
        .size:           2
        .value_kind:     hidden_remainder_y
      - .offset:         110
        .size:           2
        .value_kind:     hidden_remainder_z
      - .offset:         128
        .size:           8
        .value_kind:     hidden_global_offset_x
      - .offset:         136
        .size:           8
        .value_kind:     hidden_global_offset_y
      - .offset:         144
        .size:           8
        .value_kind:     hidden_global_offset_z
      - .offset:         152
        .size:           2
        .value_kind:     hidden_grid_dims
      - .offset:         168
        .size:           8
        .value_kind:     hidden_hostcall_buffer
    .group_segment_fixed_size: 0
    .kernarg_segment_align: 8
    .kernarg_segment_size: 344
    .language:       OpenCL C
    .language_version:
      - 2
      - 0
    .max_flat_workgroup_size: 1024
    .name:           Transform_BF16_S_001_16_16_VW_1
    .private_segment_fixed_size: 64
    .sgpr_count:     36
    .sgpr_spill_count: 0
    .symbol:         Transform_BF16_S_001_16_16_VW_1.kd
    .uniform_work_group_size: 1
    .uses_dynamic_stack: false
    .vgpr_count:     42
    .vgpr_spill_count: 0
    .wavefront_size: 32
    .workgroup_processor_mode: 1
  - .args:
      - .address_space:  global
        .offset:         0
        .size:           8
        .value_kind:     global_buffer
      - .address_space:  global
        .offset:         8
        .size:           8
        .value_kind:     global_buffer
      - .address_space:  global
        .offset:         16
        .size:           8
        .value_kind:     global_buffer
      - .offset:         24
        .size:           4
        .value_kind:     by_value
      - .address_space:  global
        .offset:         32
        .size:           8
        .value_kind:     global_buffer
      - .offset:         40
        .size:           4
        .value_kind:     by_value
      - .address_space:  global
        .offset:         48
        .size:           8
        .value_kind:     global_buffer
      - .offset:         56
        .size:           4
        .value_kind:     by_value
      - .offset:         60
        .size:           4
        .value_kind:     by_value
      - .offset:         64
        .size:           4
        .value_kind:     by_value
      - .offset:         68
        .size:           4
        .value_kind:     by_value
      - .offset:         72
        .size:           4
        .value_kind:     by_value
      - .offset:         76
        .size:           4
        .value_kind:     by_value
      - .offset:         80
        .size:           1
        .value_kind:     by_value
      - .offset:         81
        .size:           1
        .value_kind:     by_value
      - .offset:         88
        .size:           4
        .value_kind:     hidden_block_count_x
      - .offset:         92
        .size:           4
        .value_kind:     hidden_block_count_y
      - .offset:         96
        .size:           4
        .value_kind:     hidden_block_count_z
      - .offset:         100
        .size:           2
        .value_kind:     hidden_group_size_x
      - .offset:         102
        .size:           2
        .value_kind:     hidden_group_size_y
      - .offset:         104
        .size:           2
        .value_kind:     hidden_group_size_z
      - .offset:         106
        .size:           2
        .value_kind:     hidden_remainder_x
      - .offset:         108
        .size:           2
        .value_kind:     hidden_remainder_y
      - .offset:         110
        .size:           2
        .value_kind:     hidden_remainder_z
      - .offset:         128
        .size:           8
        .value_kind:     hidden_global_offset_x
      - .offset:         136
        .size:           8
        .value_kind:     hidden_global_offset_y
      - .offset:         144
        .size:           8
        .value_kind:     hidden_global_offset_z
      - .offset:         152
        .size:           2
        .value_kind:     hidden_grid_dims
      - .offset:         168
        .size:           8
        .value_kind:     hidden_hostcall_buffer
    .group_segment_fixed_size: 8192
    .kernarg_segment_align: 8
    .kernarg_segment_size: 344
    .language:       OpenCL C
    .language_version:
      - 2
      - 0
    .max_flat_workgroup_size: 1024
    .name:           Transform_BF16_S_001_16_16_VW_4
    .private_segment_fixed_size: 64
    .sgpr_count:     36
    .sgpr_spill_count: 0
    .symbol:         Transform_BF16_S_001_16_16_VW_4.kd
    .uniform_work_group_size: 1
    .uses_dynamic_stack: false
    .vgpr_count:     42
    .vgpr_spill_count: 0
    .wavefront_size: 32
    .workgroup_processor_mode: 1
  - .args:
      - .address_space:  global
        .offset:         0
        .size:           8
        .value_kind:     global_buffer
      - .address_space:  global
        .offset:         8
        .size:           8
        .value_kind:     global_buffer
      - .address_space:  global
        .offset:         16
        .size:           8
        .value_kind:     global_buffer
      - .offset:         24
        .size:           4
        .value_kind:     by_value
      - .address_space:  global
        .offset:         32
        .size:           8
        .value_kind:     global_buffer
      - .offset:         40
        .size:           4
        .value_kind:     by_value
      - .address_space:  global
        .offset:         48
        .size:           8
        .value_kind:     global_buffer
      - .offset:         56
        .size:           4
        .value_kind:     by_value
      - .offset:         60
        .size:           4
        .value_kind:     by_value
      - .offset:         64
        .size:           4
        .value_kind:     by_value
      - .offset:         68
        .size:           4
        .value_kind:     by_value
      - .offset:         72
        .size:           4
        .value_kind:     by_value
      - .offset:         76
        .size:           4
        .value_kind:     by_value
      - .offset:         80
        .size:           1
        .value_kind:     by_value
      - .offset:         81
        .size:           1
        .value_kind:     by_value
      - .offset:         88
        .size:           4
        .value_kind:     hidden_block_count_x
      - .offset:         92
        .size:           4
        .value_kind:     hidden_block_count_y
      - .offset:         96
        .size:           4
        .value_kind:     hidden_block_count_z
      - .offset:         100
        .size:           2
        .value_kind:     hidden_group_size_x
      - .offset:         102
        .size:           2
        .value_kind:     hidden_group_size_y
      - .offset:         104
        .size:           2
        .value_kind:     hidden_group_size_z
      - .offset:         106
        .size:           2
        .value_kind:     hidden_remainder_x
      - .offset:         108
        .size:           2
        .value_kind:     hidden_remainder_y
      - .offset:         110
        .size:           2
        .value_kind:     hidden_remainder_z
      - .offset:         128
        .size:           8
        .value_kind:     hidden_global_offset_x
      - .offset:         136
        .size:           8
        .value_kind:     hidden_global_offset_y
      - .offset:         144
        .size:           8
        .value_kind:     hidden_global_offset_z
      - .offset:         152
        .size:           2
        .value_kind:     hidden_grid_dims
      - .offset:         168
        .size:           8
        .value_kind:     hidden_hostcall_buffer
    .group_segment_fixed_size: 0
    .kernarg_segment_align: 8
    .kernarg_segment_size: 344
    .language:       OpenCL C
    .language_version:
      - 2
      - 0
    .max_flat_workgroup_size: 1024
    .name:           Transform_BF16_S_000_16_16_VW_1
    .private_segment_fixed_size: 64
    .sgpr_count:     36
    .sgpr_spill_count: 0
    .symbol:         Transform_BF16_S_000_16_16_VW_1.kd
    .uniform_work_group_size: 1
    .uses_dynamic_stack: false
    .vgpr_count:     42
    .vgpr_spill_count: 0
    .wavefront_size: 32
    .workgroup_processor_mode: 1
  - .args:
      - .address_space:  global
        .offset:         0
        .size:           8
        .value_kind:     global_buffer
      - .address_space:  global
        .offset:         8
        .size:           8
        .value_kind:     global_buffer
      - .address_space:  global
        .offset:         16
        .size:           8
        .value_kind:     global_buffer
      - .offset:         24
        .size:           4
        .value_kind:     by_value
      - .address_space:  global
        .offset:         32
        .size:           8
        .value_kind:     global_buffer
      - .offset:         40
        .size:           4
        .value_kind:     by_value
      - .address_space:  global
        .offset:         48
        .size:           8
        .value_kind:     global_buffer
      - .offset:         56
        .size:           4
        .value_kind:     by_value
      - .offset:         60
        .size:           4
        .value_kind:     by_value
      - .offset:         64
        .size:           4
        .value_kind:     by_value
      - .offset:         68
        .size:           4
        .value_kind:     by_value
      - .offset:         72
        .size:           4
        .value_kind:     by_value
      - .offset:         76
        .size:           4
        .value_kind:     by_value
      - .offset:         80
        .size:           1
        .value_kind:     by_value
      - .offset:         81
        .size:           1
        .value_kind:     by_value
      - .offset:         88
        .size:           4
        .value_kind:     hidden_block_count_x
      - .offset:         92
        .size:           4
        .value_kind:     hidden_block_count_y
      - .offset:         96
        .size:           4
        .value_kind:     hidden_block_count_z
      - .offset:         100
        .size:           2
        .value_kind:     hidden_group_size_x
      - .offset:         102
        .size:           2
        .value_kind:     hidden_group_size_y
      - .offset:         104
        .size:           2
        .value_kind:     hidden_group_size_z
      - .offset:         106
        .size:           2
        .value_kind:     hidden_remainder_x
      - .offset:         108
        .size:           2
        .value_kind:     hidden_remainder_y
      - .offset:         110
        .size:           2
        .value_kind:     hidden_remainder_z
      - .offset:         128
        .size:           8
        .value_kind:     hidden_global_offset_x
      - .offset:         136
        .size:           8
        .value_kind:     hidden_global_offset_y
      - .offset:         144
        .size:           8
        .value_kind:     hidden_global_offset_z
      - .offset:         152
        .size:           2
        .value_kind:     hidden_grid_dims
      - .offset:         168
        .size:           8
        .value_kind:     hidden_hostcall_buffer
    .group_segment_fixed_size: 8192
    .kernarg_segment_align: 8
    .kernarg_segment_size: 344
    .language:       OpenCL C
    .language_version:
      - 2
      - 0
    .max_flat_workgroup_size: 1024
    .name:           Transform_BF16_S_000_16_16_VW_4
    .private_segment_fixed_size: 64
    .sgpr_count:     36
    .sgpr_spill_count: 0
    .symbol:         Transform_BF16_S_000_16_16_VW_4.kd
    .uniform_work_group_size: 1
    .uses_dynamic_stack: false
    .vgpr_count:     42
    .vgpr_spill_count: 0
    .wavefront_size: 32
    .workgroup_processor_mode: 1
  - .args:
      - .address_space:  global
        .offset:         0
        .size:           8
        .value_kind:     global_buffer
      - .address_space:  global
        .offset:         8
        .size:           8
        .value_kind:     global_buffer
      - .address_space:  global
        .offset:         16
        .size:           8
        .value_kind:     global_buffer
      - .offset:         24
        .size:           4
        .value_kind:     by_value
      - .address_space:  global
        .offset:         32
        .size:           8
        .value_kind:     global_buffer
      - .offset:         40
        .size:           4
        .value_kind:     by_value
      - .address_space:  global
        .offset:         48
        .size:           8
        .value_kind:     global_buffer
      - .offset:         56
        .size:           4
        .value_kind:     by_value
      - .offset:         60
        .size:           4
        .value_kind:     by_value
      - .offset:         64
        .size:           4
        .value_kind:     by_value
      - .offset:         68
        .size:           4
        .value_kind:     by_value
      - .offset:         72
        .size:           4
        .value_kind:     by_value
      - .offset:         76
        .size:           4
        .value_kind:     by_value
      - .offset:         80
        .size:           1
        .value_kind:     by_value
      - .offset:         81
        .size:           1
        .value_kind:     by_value
      - .offset:         88
        .size:           4
        .value_kind:     hidden_block_count_x
      - .offset:         92
        .size:           4
        .value_kind:     hidden_block_count_y
      - .offset:         96
        .size:           4
        .value_kind:     hidden_block_count_z
      - .offset:         100
        .size:           2
        .value_kind:     hidden_group_size_x
      - .offset:         102
        .size:           2
        .value_kind:     hidden_group_size_y
      - .offset:         104
        .size:           2
        .value_kind:     hidden_group_size_z
      - .offset:         106
        .size:           2
        .value_kind:     hidden_remainder_x
      - .offset:         108
        .size:           2
        .value_kind:     hidden_remainder_y
      - .offset:         110
        .size:           2
        .value_kind:     hidden_remainder_z
      - .offset:         128
        .size:           8
        .value_kind:     hidden_global_offset_x
      - .offset:         136
        .size:           8
        .value_kind:     hidden_global_offset_y
      - .offset:         144
        .size:           8
        .value_kind:     hidden_global_offset_z
      - .offset:         152
        .size:           2
        .value_kind:     hidden_grid_dims
      - .offset:         168
        .size:           8
        .value_kind:     hidden_hostcall_buffer
    .group_segment_fixed_size: 0
    .kernarg_segment_align: 8
    .kernarg_segment_size: 344
    .language:       OpenCL C
    .language_version:
      - 2
      - 0
    .max_flat_workgroup_size: 1024
    .name:           Transform_I8_S_111_16_16_VW_1
    .private_segment_fixed_size: 64
    .sgpr_count:     36
    .sgpr_spill_count: 0
    .symbol:         Transform_I8_S_111_16_16_VW_1.kd
    .uniform_work_group_size: 1
    .uses_dynamic_stack: false
    .vgpr_count:     42
    .vgpr_spill_count: 0
    .wavefront_size: 32
    .workgroup_processor_mode: 1
  - .args:
      - .address_space:  global
        .offset:         0
        .size:           8
        .value_kind:     global_buffer
      - .address_space:  global
        .offset:         8
        .size:           8
        .value_kind:     global_buffer
      - .address_space:  global
        .offset:         16
        .size:           8
        .value_kind:     global_buffer
      - .offset:         24
        .size:           4
        .value_kind:     by_value
      - .address_space:  global
        .offset:         32
        .size:           8
        .value_kind:     global_buffer
      - .offset:         40
        .size:           4
        .value_kind:     by_value
      - .address_space:  global
        .offset:         48
        .size:           8
        .value_kind:     global_buffer
      - .offset:         56
        .size:           4
        .value_kind:     by_value
      - .offset:         60
        .size:           4
        .value_kind:     by_value
      - .offset:         64
        .size:           4
        .value_kind:     by_value
      - .offset:         68
        .size:           4
        .value_kind:     by_value
      - .offset:         72
        .size:           4
        .value_kind:     by_value
      - .offset:         76
        .size:           4
        .value_kind:     by_value
      - .offset:         80
        .size:           1
        .value_kind:     by_value
      - .offset:         81
        .size:           1
        .value_kind:     by_value
      - .offset:         88
        .size:           4
        .value_kind:     hidden_block_count_x
      - .offset:         92
        .size:           4
        .value_kind:     hidden_block_count_y
      - .offset:         96
        .size:           4
        .value_kind:     hidden_block_count_z
      - .offset:         100
        .size:           2
        .value_kind:     hidden_group_size_x
      - .offset:         102
        .size:           2
        .value_kind:     hidden_group_size_y
      - .offset:         104
        .size:           2
        .value_kind:     hidden_group_size_z
      - .offset:         106
        .size:           2
        .value_kind:     hidden_remainder_x
      - .offset:         108
        .size:           2
        .value_kind:     hidden_remainder_y
      - .offset:         110
        .size:           2
        .value_kind:     hidden_remainder_z
      - .offset:         128
        .size:           8
        .value_kind:     hidden_global_offset_x
      - .offset:         136
        .size:           8
        .value_kind:     hidden_global_offset_y
      - .offset:         144
        .size:           8
        .value_kind:     hidden_global_offset_z
      - .offset:         152
        .size:           2
        .value_kind:     hidden_grid_dims
      - .offset:         168
        .size:           8
        .value_kind:     hidden_hostcall_buffer
    .group_segment_fixed_size: 0
    .kernarg_segment_align: 8
    .kernarg_segment_size: 344
    .language:       OpenCL C
    .language_version:
      - 2
      - 0
    .max_flat_workgroup_size: 1024
    .name:           Transform_I8_S_111_16_16_VW_4
    .private_segment_fixed_size: 64
    .sgpr_count:     36
    .sgpr_spill_count: 0
    .symbol:         Transform_I8_S_111_16_16_VW_4.kd
    .uniform_work_group_size: 1
    .uses_dynamic_stack: false
    .vgpr_count:     42
    .vgpr_spill_count: 0
    .wavefront_size: 32
    .workgroup_processor_mode: 1
  - .args:
      - .address_space:  global
        .offset:         0
        .size:           8
        .value_kind:     global_buffer
      - .address_space:  global
        .offset:         8
        .size:           8
        .value_kind:     global_buffer
      - .address_space:  global
        .offset:         16
        .size:           8
        .value_kind:     global_buffer
      - .offset:         24
        .size:           4
        .value_kind:     by_value
      - .address_space:  global
        .offset:         32
        .size:           8
        .value_kind:     global_buffer
      - .offset:         40
        .size:           4
        .value_kind:     by_value
      - .address_space:  global
        .offset:         48
        .size:           8
        .value_kind:     global_buffer
      - .offset:         56
        .size:           4
        .value_kind:     by_value
      - .offset:         60
        .size:           4
        .value_kind:     by_value
      - .offset:         64
        .size:           4
        .value_kind:     by_value
      - .offset:         68
        .size:           4
        .value_kind:     by_value
      - .offset:         72
        .size:           4
        .value_kind:     by_value
      - .offset:         76
        .size:           4
        .value_kind:     by_value
      - .offset:         80
        .size:           1
        .value_kind:     by_value
      - .offset:         81
        .size:           1
        .value_kind:     by_value
      - .offset:         88
        .size:           4
        .value_kind:     hidden_block_count_x
      - .offset:         92
        .size:           4
        .value_kind:     hidden_block_count_y
      - .offset:         96
        .size:           4
        .value_kind:     hidden_block_count_z
      - .offset:         100
        .size:           2
        .value_kind:     hidden_group_size_x
      - .offset:         102
        .size:           2
        .value_kind:     hidden_group_size_y
      - .offset:         104
        .size:           2
        .value_kind:     hidden_group_size_z
      - .offset:         106
        .size:           2
        .value_kind:     hidden_remainder_x
      - .offset:         108
        .size:           2
        .value_kind:     hidden_remainder_y
      - .offset:         110
        .size:           2
        .value_kind:     hidden_remainder_z
      - .offset:         128
        .size:           8
        .value_kind:     hidden_global_offset_x
      - .offset:         136
        .size:           8
        .value_kind:     hidden_global_offset_y
      - .offset:         144
        .size:           8
        .value_kind:     hidden_global_offset_z
      - .offset:         152
        .size:           2
        .value_kind:     hidden_grid_dims
      - .offset:         168
        .size:           8
        .value_kind:     hidden_hostcall_buffer
    .group_segment_fixed_size: 0
    .kernarg_segment_align: 8
    .kernarg_segment_size: 344
    .language:       OpenCL C
    .language_version:
      - 2
      - 0
    .max_flat_workgroup_size: 1024
    .name:           Transform_I8_S_110_16_16_VW_1
    .private_segment_fixed_size: 64
    .sgpr_count:     36
    .sgpr_spill_count: 0
    .symbol:         Transform_I8_S_110_16_16_VW_1.kd
    .uniform_work_group_size: 1
    .uses_dynamic_stack: false
    .vgpr_count:     42
    .vgpr_spill_count: 0
    .wavefront_size: 32
    .workgroup_processor_mode: 1
  - .args:
      - .address_space:  global
        .offset:         0
        .size:           8
        .value_kind:     global_buffer
      - .address_space:  global
        .offset:         8
        .size:           8
        .value_kind:     global_buffer
      - .address_space:  global
        .offset:         16
        .size:           8
        .value_kind:     global_buffer
      - .offset:         24
        .size:           4
        .value_kind:     by_value
      - .address_space:  global
        .offset:         32
        .size:           8
        .value_kind:     global_buffer
      - .offset:         40
        .size:           4
        .value_kind:     by_value
      - .address_space:  global
        .offset:         48
        .size:           8
        .value_kind:     global_buffer
      - .offset:         56
        .size:           4
        .value_kind:     by_value
      - .offset:         60
        .size:           4
        .value_kind:     by_value
      - .offset:         64
        .size:           4
        .value_kind:     by_value
      - .offset:         68
        .size:           4
        .value_kind:     by_value
      - .offset:         72
        .size:           4
        .value_kind:     by_value
      - .offset:         76
        .size:           4
        .value_kind:     by_value
      - .offset:         80
        .size:           1
        .value_kind:     by_value
      - .offset:         81
        .size:           1
        .value_kind:     by_value
      - .offset:         88
        .size:           4
        .value_kind:     hidden_block_count_x
      - .offset:         92
        .size:           4
        .value_kind:     hidden_block_count_y
      - .offset:         96
        .size:           4
        .value_kind:     hidden_block_count_z
      - .offset:         100
        .size:           2
        .value_kind:     hidden_group_size_x
      - .offset:         102
        .size:           2
        .value_kind:     hidden_group_size_y
      - .offset:         104
        .size:           2
        .value_kind:     hidden_group_size_z
      - .offset:         106
        .size:           2
        .value_kind:     hidden_remainder_x
      - .offset:         108
        .size:           2
        .value_kind:     hidden_remainder_y
      - .offset:         110
        .size:           2
        .value_kind:     hidden_remainder_z
      - .offset:         128
        .size:           8
        .value_kind:     hidden_global_offset_x
      - .offset:         136
        .size:           8
        .value_kind:     hidden_global_offset_y
      - .offset:         144
        .size:           8
        .value_kind:     hidden_global_offset_z
      - .offset:         152
        .size:           2
        .value_kind:     hidden_grid_dims
      - .offset:         168
        .size:           8
        .value_kind:     hidden_hostcall_buffer
    .group_segment_fixed_size: 0
    .kernarg_segment_align: 8
    .kernarg_segment_size: 344
    .language:       OpenCL C
    .language_version:
      - 2
      - 0
    .max_flat_workgroup_size: 1024
    .name:           Transform_I8_S_110_16_16_VW_4
    .private_segment_fixed_size: 64
    .sgpr_count:     36
    .sgpr_spill_count: 0
    .symbol:         Transform_I8_S_110_16_16_VW_4.kd
    .uniform_work_group_size: 1
    .uses_dynamic_stack: false
    .vgpr_count:     42
    .vgpr_spill_count: 0
    .wavefront_size: 32
    .workgroup_processor_mode: 1
  - .args:
      - .address_space:  global
        .offset:         0
        .size:           8
        .value_kind:     global_buffer
      - .address_space:  global
        .offset:         8
        .size:           8
        .value_kind:     global_buffer
      - .address_space:  global
        .offset:         16
        .size:           8
        .value_kind:     global_buffer
      - .offset:         24
        .size:           4
        .value_kind:     by_value
      - .address_space:  global
        .offset:         32
        .size:           8
        .value_kind:     global_buffer
      - .offset:         40
        .size:           4
        .value_kind:     by_value
      - .address_space:  global
        .offset:         48
        .size:           8
        .value_kind:     global_buffer
      - .offset:         56
        .size:           4
        .value_kind:     by_value
      - .offset:         60
        .size:           4
        .value_kind:     by_value
      - .offset:         64
        .size:           4
        .value_kind:     by_value
      - .offset:         68
        .size:           4
        .value_kind:     by_value
      - .offset:         72
        .size:           4
        .value_kind:     by_value
      - .offset:         76
        .size:           4
        .value_kind:     by_value
      - .offset:         80
        .size:           1
        .value_kind:     by_value
      - .offset:         81
        .size:           1
        .value_kind:     by_value
      - .offset:         88
        .size:           4
        .value_kind:     hidden_block_count_x
      - .offset:         92
        .size:           4
        .value_kind:     hidden_block_count_y
      - .offset:         96
        .size:           4
        .value_kind:     hidden_block_count_z
      - .offset:         100
        .size:           2
        .value_kind:     hidden_group_size_x
      - .offset:         102
        .size:           2
        .value_kind:     hidden_group_size_y
      - .offset:         104
        .size:           2
        .value_kind:     hidden_group_size_z
      - .offset:         106
        .size:           2
        .value_kind:     hidden_remainder_x
      - .offset:         108
        .size:           2
        .value_kind:     hidden_remainder_y
      - .offset:         110
        .size:           2
        .value_kind:     hidden_remainder_z
      - .offset:         128
        .size:           8
        .value_kind:     hidden_global_offset_x
      - .offset:         136
        .size:           8
        .value_kind:     hidden_global_offset_y
      - .offset:         144
        .size:           8
        .value_kind:     hidden_global_offset_z
      - .offset:         152
        .size:           2
        .value_kind:     hidden_grid_dims
      - .offset:         168
        .size:           8
        .value_kind:     hidden_hostcall_buffer
    .group_segment_fixed_size: 0
    .kernarg_segment_align: 8
    .kernarg_segment_size: 344
    .language:       OpenCL C
    .language_version:
      - 2
      - 0
    .max_flat_workgroup_size: 1024
    .name:           Transform_I8_S_101_16_16_VW_1
    .private_segment_fixed_size: 64
    .sgpr_count:     36
    .sgpr_spill_count: 0
    .symbol:         Transform_I8_S_101_16_16_VW_1.kd
    .uniform_work_group_size: 1
    .uses_dynamic_stack: false
    .vgpr_count:     42
    .vgpr_spill_count: 0
    .wavefront_size: 32
    .workgroup_processor_mode: 1
  - .args:
      - .address_space:  global
        .offset:         0
        .size:           8
        .value_kind:     global_buffer
      - .address_space:  global
        .offset:         8
        .size:           8
        .value_kind:     global_buffer
      - .address_space:  global
        .offset:         16
        .size:           8
        .value_kind:     global_buffer
      - .offset:         24
        .size:           4
        .value_kind:     by_value
      - .address_space:  global
        .offset:         32
        .size:           8
        .value_kind:     global_buffer
      - .offset:         40
        .size:           4
        .value_kind:     by_value
      - .address_space:  global
        .offset:         48
        .size:           8
        .value_kind:     global_buffer
      - .offset:         56
        .size:           4
        .value_kind:     by_value
      - .offset:         60
        .size:           4
        .value_kind:     by_value
      - .offset:         64
        .size:           4
        .value_kind:     by_value
      - .offset:         68
        .size:           4
        .value_kind:     by_value
      - .offset:         72
        .size:           4
        .value_kind:     by_value
      - .offset:         76
        .size:           4
        .value_kind:     by_value
      - .offset:         80
        .size:           1
        .value_kind:     by_value
      - .offset:         81
        .size:           1
        .value_kind:     by_value
      - .offset:         88
        .size:           4
        .value_kind:     hidden_block_count_x
      - .offset:         92
        .size:           4
        .value_kind:     hidden_block_count_y
      - .offset:         96
        .size:           4
        .value_kind:     hidden_block_count_z
      - .offset:         100
        .size:           2
        .value_kind:     hidden_group_size_x
      - .offset:         102
        .size:           2
        .value_kind:     hidden_group_size_y
      - .offset:         104
        .size:           2
        .value_kind:     hidden_group_size_z
      - .offset:         106
        .size:           2
        .value_kind:     hidden_remainder_x
      - .offset:         108
        .size:           2
        .value_kind:     hidden_remainder_y
      - .offset:         110
        .size:           2
        .value_kind:     hidden_remainder_z
      - .offset:         128
        .size:           8
        .value_kind:     hidden_global_offset_x
      - .offset:         136
        .size:           8
        .value_kind:     hidden_global_offset_y
      - .offset:         144
        .size:           8
        .value_kind:     hidden_global_offset_z
      - .offset:         152
        .size:           2
        .value_kind:     hidden_grid_dims
      - .offset:         168
        .size:           8
        .value_kind:     hidden_hostcall_buffer
    .group_segment_fixed_size: 0
    .kernarg_segment_align: 8
    .kernarg_segment_size: 344
    .language:       OpenCL C
    .language_version:
      - 2
      - 0
    .max_flat_workgroup_size: 1024
    .name:           Transform_I8_S_101_16_16_VW_4
    .private_segment_fixed_size: 64
    .sgpr_count:     36
    .sgpr_spill_count: 0
    .symbol:         Transform_I8_S_101_16_16_VW_4.kd
    .uniform_work_group_size: 1
    .uses_dynamic_stack: false
    .vgpr_count:     42
    .vgpr_spill_count: 0
    .wavefront_size: 32
    .workgroup_processor_mode: 1
  - .args:
      - .address_space:  global
        .offset:         0
        .size:           8
        .value_kind:     global_buffer
      - .address_space:  global
        .offset:         8
        .size:           8
        .value_kind:     global_buffer
      - .address_space:  global
        .offset:         16
        .size:           8
        .value_kind:     global_buffer
      - .offset:         24
        .size:           4
        .value_kind:     by_value
      - .address_space:  global
        .offset:         32
        .size:           8
        .value_kind:     global_buffer
      - .offset:         40
        .size:           4
        .value_kind:     by_value
      - .address_space:  global
        .offset:         48
        .size:           8
        .value_kind:     global_buffer
      - .offset:         56
        .size:           4
        .value_kind:     by_value
      - .offset:         60
        .size:           4
        .value_kind:     by_value
      - .offset:         64
        .size:           4
        .value_kind:     by_value
      - .offset:         68
        .size:           4
        .value_kind:     by_value
      - .offset:         72
        .size:           4
        .value_kind:     by_value
      - .offset:         76
        .size:           4
        .value_kind:     by_value
      - .offset:         80
        .size:           1
        .value_kind:     by_value
      - .offset:         81
        .size:           1
        .value_kind:     by_value
      - .offset:         88
        .size:           4
        .value_kind:     hidden_block_count_x
      - .offset:         92
        .size:           4
        .value_kind:     hidden_block_count_y
      - .offset:         96
        .size:           4
        .value_kind:     hidden_block_count_z
      - .offset:         100
        .size:           2
        .value_kind:     hidden_group_size_x
      - .offset:         102
        .size:           2
        .value_kind:     hidden_group_size_y
      - .offset:         104
        .size:           2
        .value_kind:     hidden_group_size_z
      - .offset:         106
        .size:           2
        .value_kind:     hidden_remainder_x
      - .offset:         108
        .size:           2
        .value_kind:     hidden_remainder_y
      - .offset:         110
        .size:           2
        .value_kind:     hidden_remainder_z
      - .offset:         128
        .size:           8
        .value_kind:     hidden_global_offset_x
      - .offset:         136
        .size:           8
        .value_kind:     hidden_global_offset_y
      - .offset:         144
        .size:           8
        .value_kind:     hidden_global_offset_z
      - .offset:         152
        .size:           2
        .value_kind:     hidden_grid_dims
      - .offset:         168
        .size:           8
        .value_kind:     hidden_hostcall_buffer
    .group_segment_fixed_size: 0
    .kernarg_segment_align: 8
    .kernarg_segment_size: 344
    .language:       OpenCL C
    .language_version:
      - 2
      - 0
    .max_flat_workgroup_size: 1024
    .name:           Transform_I8_S_100_16_16_VW_1
    .private_segment_fixed_size: 64
    .sgpr_count:     36
    .sgpr_spill_count: 0
    .symbol:         Transform_I8_S_100_16_16_VW_1.kd
    .uniform_work_group_size: 1
    .uses_dynamic_stack: false
    .vgpr_count:     42
    .vgpr_spill_count: 0
    .wavefront_size: 32
    .workgroup_processor_mode: 1
  - .args:
      - .address_space:  global
        .offset:         0
        .size:           8
        .value_kind:     global_buffer
      - .address_space:  global
        .offset:         8
        .size:           8
        .value_kind:     global_buffer
      - .address_space:  global
        .offset:         16
        .size:           8
        .value_kind:     global_buffer
      - .offset:         24
        .size:           4
        .value_kind:     by_value
      - .address_space:  global
        .offset:         32
        .size:           8
        .value_kind:     global_buffer
      - .offset:         40
        .size:           4
        .value_kind:     by_value
      - .address_space:  global
        .offset:         48
        .size:           8
        .value_kind:     global_buffer
      - .offset:         56
        .size:           4
        .value_kind:     by_value
      - .offset:         60
        .size:           4
        .value_kind:     by_value
      - .offset:         64
        .size:           4
        .value_kind:     by_value
      - .offset:         68
        .size:           4
        .value_kind:     by_value
      - .offset:         72
        .size:           4
        .value_kind:     by_value
      - .offset:         76
        .size:           4
        .value_kind:     by_value
      - .offset:         80
        .size:           1
        .value_kind:     by_value
      - .offset:         81
        .size:           1
        .value_kind:     by_value
      - .offset:         88
        .size:           4
        .value_kind:     hidden_block_count_x
      - .offset:         92
        .size:           4
        .value_kind:     hidden_block_count_y
      - .offset:         96
        .size:           4
        .value_kind:     hidden_block_count_z
      - .offset:         100
        .size:           2
        .value_kind:     hidden_group_size_x
      - .offset:         102
        .size:           2
        .value_kind:     hidden_group_size_y
      - .offset:         104
        .size:           2
        .value_kind:     hidden_group_size_z
      - .offset:         106
        .size:           2
        .value_kind:     hidden_remainder_x
      - .offset:         108
        .size:           2
        .value_kind:     hidden_remainder_y
      - .offset:         110
        .size:           2
        .value_kind:     hidden_remainder_z
      - .offset:         128
        .size:           8
        .value_kind:     hidden_global_offset_x
      - .offset:         136
        .size:           8
        .value_kind:     hidden_global_offset_y
      - .offset:         144
        .size:           8
        .value_kind:     hidden_global_offset_z
      - .offset:         152
        .size:           2
        .value_kind:     hidden_grid_dims
      - .offset:         168
        .size:           8
        .value_kind:     hidden_hostcall_buffer
    .group_segment_fixed_size: 0
    .kernarg_segment_align: 8
    .kernarg_segment_size: 344
    .language:       OpenCL C
    .language_version:
      - 2
      - 0
    .max_flat_workgroup_size: 1024
    .name:           Transform_I8_S_100_16_16_VW_4
    .private_segment_fixed_size: 64
    .sgpr_count:     36
    .sgpr_spill_count: 0
    .symbol:         Transform_I8_S_100_16_16_VW_4.kd
    .uniform_work_group_size: 1
    .uses_dynamic_stack: false
    .vgpr_count:     42
    .vgpr_spill_count: 0
    .wavefront_size: 32
    .workgroup_processor_mode: 1
  - .args:
      - .address_space:  global
        .offset:         0
        .size:           8
        .value_kind:     global_buffer
      - .address_space:  global
        .offset:         8
        .size:           8
        .value_kind:     global_buffer
      - .address_space:  global
        .offset:         16
        .size:           8
        .value_kind:     global_buffer
      - .offset:         24
        .size:           4
        .value_kind:     by_value
      - .address_space:  global
        .offset:         32
        .size:           8
        .value_kind:     global_buffer
      - .offset:         40
        .size:           4
        .value_kind:     by_value
      - .address_space:  global
        .offset:         48
        .size:           8
        .value_kind:     global_buffer
      - .offset:         56
        .size:           4
        .value_kind:     by_value
      - .offset:         60
        .size:           4
        .value_kind:     by_value
      - .offset:         64
        .size:           4
        .value_kind:     by_value
      - .offset:         68
        .size:           4
        .value_kind:     by_value
      - .offset:         72
        .size:           4
        .value_kind:     by_value
      - .offset:         76
        .size:           4
        .value_kind:     by_value
      - .offset:         80
        .size:           1
        .value_kind:     by_value
      - .offset:         81
        .size:           1
        .value_kind:     by_value
      - .offset:         88
        .size:           4
        .value_kind:     hidden_block_count_x
      - .offset:         92
        .size:           4
        .value_kind:     hidden_block_count_y
      - .offset:         96
        .size:           4
        .value_kind:     hidden_block_count_z
      - .offset:         100
        .size:           2
        .value_kind:     hidden_group_size_x
      - .offset:         102
        .size:           2
        .value_kind:     hidden_group_size_y
      - .offset:         104
        .size:           2
        .value_kind:     hidden_group_size_z
      - .offset:         106
        .size:           2
        .value_kind:     hidden_remainder_x
      - .offset:         108
        .size:           2
        .value_kind:     hidden_remainder_y
      - .offset:         110
        .size:           2
        .value_kind:     hidden_remainder_z
      - .offset:         128
        .size:           8
        .value_kind:     hidden_global_offset_x
      - .offset:         136
        .size:           8
        .value_kind:     hidden_global_offset_y
      - .offset:         144
        .size:           8
        .value_kind:     hidden_global_offset_z
      - .offset:         152
        .size:           2
        .value_kind:     hidden_grid_dims
      - .offset:         168
        .size:           8
        .value_kind:     hidden_hostcall_buffer
    .group_segment_fixed_size: 0
    .kernarg_segment_align: 8
    .kernarg_segment_size: 344
    .language:       OpenCL C
    .language_version:
      - 2
      - 0
    .max_flat_workgroup_size: 1024
    .name:           Transform_I8_S_011_16_16_VW_1
    .private_segment_fixed_size: 64
    .sgpr_count:     36
    .sgpr_spill_count: 0
    .symbol:         Transform_I8_S_011_16_16_VW_1.kd
    .uniform_work_group_size: 1
    .uses_dynamic_stack: false
    .vgpr_count:     42
    .vgpr_spill_count: 0
    .wavefront_size: 32
    .workgroup_processor_mode: 1
  - .args:
      - .address_space:  global
        .offset:         0
        .size:           8
        .value_kind:     global_buffer
      - .address_space:  global
        .offset:         8
        .size:           8
        .value_kind:     global_buffer
      - .address_space:  global
        .offset:         16
        .size:           8
        .value_kind:     global_buffer
      - .offset:         24
        .size:           4
        .value_kind:     by_value
      - .address_space:  global
        .offset:         32
        .size:           8
        .value_kind:     global_buffer
      - .offset:         40
        .size:           4
        .value_kind:     by_value
      - .address_space:  global
        .offset:         48
        .size:           8
        .value_kind:     global_buffer
      - .offset:         56
        .size:           4
        .value_kind:     by_value
      - .offset:         60
        .size:           4
        .value_kind:     by_value
      - .offset:         64
        .size:           4
        .value_kind:     by_value
      - .offset:         68
        .size:           4
        .value_kind:     by_value
      - .offset:         72
        .size:           4
        .value_kind:     by_value
      - .offset:         76
        .size:           4
        .value_kind:     by_value
      - .offset:         80
        .size:           1
        .value_kind:     by_value
      - .offset:         81
        .size:           1
        .value_kind:     by_value
      - .offset:         88
        .size:           4
        .value_kind:     hidden_block_count_x
      - .offset:         92
        .size:           4
        .value_kind:     hidden_block_count_y
      - .offset:         96
        .size:           4
        .value_kind:     hidden_block_count_z
      - .offset:         100
        .size:           2
        .value_kind:     hidden_group_size_x
      - .offset:         102
        .size:           2
        .value_kind:     hidden_group_size_y
      - .offset:         104
        .size:           2
        .value_kind:     hidden_group_size_z
      - .offset:         106
        .size:           2
        .value_kind:     hidden_remainder_x
      - .offset:         108
        .size:           2
        .value_kind:     hidden_remainder_y
      - .offset:         110
        .size:           2
        .value_kind:     hidden_remainder_z
      - .offset:         128
        .size:           8
        .value_kind:     hidden_global_offset_x
      - .offset:         136
        .size:           8
        .value_kind:     hidden_global_offset_y
      - .offset:         144
        .size:           8
        .value_kind:     hidden_global_offset_z
      - .offset:         152
        .size:           2
        .value_kind:     hidden_grid_dims
      - .offset:         168
        .size:           8
        .value_kind:     hidden_hostcall_buffer
    .group_segment_fixed_size: 0
    .kernarg_segment_align: 8
    .kernarg_segment_size: 344
    .language:       OpenCL C
    .language_version:
      - 2
      - 0
    .max_flat_workgroup_size: 1024
    .name:           Transform_I8_S_011_16_16_VW_4
    .private_segment_fixed_size: 64
    .sgpr_count:     36
    .sgpr_spill_count: 0
    .symbol:         Transform_I8_S_011_16_16_VW_4.kd
    .uniform_work_group_size: 1
    .uses_dynamic_stack: false
    .vgpr_count:     42
    .vgpr_spill_count: 0
    .wavefront_size: 32
    .workgroup_processor_mode: 1
  - .args:
      - .address_space:  global
        .offset:         0
        .size:           8
        .value_kind:     global_buffer
      - .address_space:  global
        .offset:         8
        .size:           8
        .value_kind:     global_buffer
      - .address_space:  global
        .offset:         16
        .size:           8
        .value_kind:     global_buffer
      - .offset:         24
        .size:           4
        .value_kind:     by_value
      - .address_space:  global
        .offset:         32
        .size:           8
        .value_kind:     global_buffer
      - .offset:         40
        .size:           4
        .value_kind:     by_value
      - .address_space:  global
        .offset:         48
        .size:           8
        .value_kind:     global_buffer
      - .offset:         56
        .size:           4
        .value_kind:     by_value
      - .offset:         60
        .size:           4
        .value_kind:     by_value
      - .offset:         64
        .size:           4
        .value_kind:     by_value
      - .offset:         68
        .size:           4
        .value_kind:     by_value
      - .offset:         72
        .size:           4
        .value_kind:     by_value
      - .offset:         76
        .size:           4
        .value_kind:     by_value
      - .offset:         80
        .size:           1
        .value_kind:     by_value
      - .offset:         81
        .size:           1
        .value_kind:     by_value
      - .offset:         88
        .size:           4
        .value_kind:     hidden_block_count_x
      - .offset:         92
        .size:           4
        .value_kind:     hidden_block_count_y
      - .offset:         96
        .size:           4
        .value_kind:     hidden_block_count_z
      - .offset:         100
        .size:           2
        .value_kind:     hidden_group_size_x
      - .offset:         102
        .size:           2
        .value_kind:     hidden_group_size_y
      - .offset:         104
        .size:           2
        .value_kind:     hidden_group_size_z
      - .offset:         106
        .size:           2
        .value_kind:     hidden_remainder_x
      - .offset:         108
        .size:           2
        .value_kind:     hidden_remainder_y
      - .offset:         110
        .size:           2
        .value_kind:     hidden_remainder_z
      - .offset:         128
        .size:           8
        .value_kind:     hidden_global_offset_x
      - .offset:         136
        .size:           8
        .value_kind:     hidden_global_offset_y
      - .offset:         144
        .size:           8
        .value_kind:     hidden_global_offset_z
      - .offset:         152
        .size:           2
        .value_kind:     hidden_grid_dims
      - .offset:         168
        .size:           8
        .value_kind:     hidden_hostcall_buffer
    .group_segment_fixed_size: 0
    .kernarg_segment_align: 8
    .kernarg_segment_size: 344
    .language:       OpenCL C
    .language_version:
      - 2
      - 0
    .max_flat_workgroup_size: 1024
    .name:           Transform_I8_S_010_16_16_VW_1
    .private_segment_fixed_size: 64
    .sgpr_count:     36
    .sgpr_spill_count: 0
    .symbol:         Transform_I8_S_010_16_16_VW_1.kd
    .uniform_work_group_size: 1
    .uses_dynamic_stack: false
    .vgpr_count:     42
    .vgpr_spill_count: 0
    .wavefront_size: 32
    .workgroup_processor_mode: 1
  - .args:
      - .address_space:  global
        .offset:         0
        .size:           8
        .value_kind:     global_buffer
      - .address_space:  global
        .offset:         8
        .size:           8
        .value_kind:     global_buffer
      - .address_space:  global
        .offset:         16
        .size:           8
        .value_kind:     global_buffer
      - .offset:         24
        .size:           4
        .value_kind:     by_value
      - .address_space:  global
        .offset:         32
        .size:           8
        .value_kind:     global_buffer
      - .offset:         40
        .size:           4
        .value_kind:     by_value
      - .address_space:  global
        .offset:         48
        .size:           8
        .value_kind:     global_buffer
      - .offset:         56
        .size:           4
        .value_kind:     by_value
      - .offset:         60
        .size:           4
        .value_kind:     by_value
      - .offset:         64
        .size:           4
        .value_kind:     by_value
      - .offset:         68
        .size:           4
        .value_kind:     by_value
      - .offset:         72
        .size:           4
        .value_kind:     by_value
      - .offset:         76
        .size:           4
        .value_kind:     by_value
      - .offset:         80
        .size:           1
        .value_kind:     by_value
      - .offset:         81
        .size:           1
        .value_kind:     by_value
      - .offset:         88
        .size:           4
        .value_kind:     hidden_block_count_x
      - .offset:         92
        .size:           4
        .value_kind:     hidden_block_count_y
      - .offset:         96
        .size:           4
        .value_kind:     hidden_block_count_z
      - .offset:         100
        .size:           2
        .value_kind:     hidden_group_size_x
      - .offset:         102
        .size:           2
        .value_kind:     hidden_group_size_y
      - .offset:         104
        .size:           2
        .value_kind:     hidden_group_size_z
      - .offset:         106
        .size:           2
        .value_kind:     hidden_remainder_x
      - .offset:         108
        .size:           2
        .value_kind:     hidden_remainder_y
      - .offset:         110
        .size:           2
        .value_kind:     hidden_remainder_z
      - .offset:         128
        .size:           8
        .value_kind:     hidden_global_offset_x
      - .offset:         136
        .size:           8
        .value_kind:     hidden_global_offset_y
      - .offset:         144
        .size:           8
        .value_kind:     hidden_global_offset_z
      - .offset:         152
        .size:           2
        .value_kind:     hidden_grid_dims
      - .offset:         168
        .size:           8
        .value_kind:     hidden_hostcall_buffer
    .group_segment_fixed_size: 0
    .kernarg_segment_align: 8
    .kernarg_segment_size: 344
    .language:       OpenCL C
    .language_version:
      - 2
      - 0
    .max_flat_workgroup_size: 1024
    .name:           Transform_I8_S_010_16_16_VW_4
    .private_segment_fixed_size: 64
    .sgpr_count:     36
    .sgpr_spill_count: 0
    .symbol:         Transform_I8_S_010_16_16_VW_4.kd
    .uniform_work_group_size: 1
    .uses_dynamic_stack: false
    .vgpr_count:     42
    .vgpr_spill_count: 0
    .wavefront_size: 32
    .workgroup_processor_mode: 1
  - .args:
      - .address_space:  global
        .offset:         0
        .size:           8
        .value_kind:     global_buffer
      - .address_space:  global
        .offset:         8
        .size:           8
        .value_kind:     global_buffer
      - .address_space:  global
        .offset:         16
        .size:           8
        .value_kind:     global_buffer
      - .offset:         24
        .size:           4
        .value_kind:     by_value
      - .address_space:  global
        .offset:         32
        .size:           8
        .value_kind:     global_buffer
      - .offset:         40
        .size:           4
        .value_kind:     by_value
      - .address_space:  global
        .offset:         48
        .size:           8
        .value_kind:     global_buffer
      - .offset:         56
        .size:           4
        .value_kind:     by_value
      - .offset:         60
        .size:           4
        .value_kind:     by_value
      - .offset:         64
        .size:           4
        .value_kind:     by_value
      - .offset:         68
        .size:           4
        .value_kind:     by_value
      - .offset:         72
        .size:           4
        .value_kind:     by_value
      - .offset:         76
        .size:           4
        .value_kind:     by_value
      - .offset:         80
        .size:           1
        .value_kind:     by_value
      - .offset:         81
        .size:           1
        .value_kind:     by_value
      - .offset:         88
        .size:           4
        .value_kind:     hidden_block_count_x
      - .offset:         92
        .size:           4
        .value_kind:     hidden_block_count_y
      - .offset:         96
        .size:           4
        .value_kind:     hidden_block_count_z
      - .offset:         100
        .size:           2
        .value_kind:     hidden_group_size_x
      - .offset:         102
        .size:           2
        .value_kind:     hidden_group_size_y
      - .offset:         104
        .size:           2
        .value_kind:     hidden_group_size_z
      - .offset:         106
        .size:           2
        .value_kind:     hidden_remainder_x
      - .offset:         108
        .size:           2
        .value_kind:     hidden_remainder_y
      - .offset:         110
        .size:           2
        .value_kind:     hidden_remainder_z
      - .offset:         128
        .size:           8
        .value_kind:     hidden_global_offset_x
      - .offset:         136
        .size:           8
        .value_kind:     hidden_global_offset_y
      - .offset:         144
        .size:           8
        .value_kind:     hidden_global_offset_z
      - .offset:         152
        .size:           2
        .value_kind:     hidden_grid_dims
      - .offset:         168
        .size:           8
        .value_kind:     hidden_hostcall_buffer
    .group_segment_fixed_size: 0
    .kernarg_segment_align: 8
    .kernarg_segment_size: 344
    .language:       OpenCL C
    .language_version:
      - 2
      - 0
    .max_flat_workgroup_size: 1024
    .name:           Transform_I8_S_001_16_16_VW_1
    .private_segment_fixed_size: 64
    .sgpr_count:     36
    .sgpr_spill_count: 0
    .symbol:         Transform_I8_S_001_16_16_VW_1.kd
    .uniform_work_group_size: 1
    .uses_dynamic_stack: false
    .vgpr_count:     42
    .vgpr_spill_count: 0
    .wavefront_size: 32
    .workgroup_processor_mode: 1
  - .args:
      - .address_space:  global
        .offset:         0
        .size:           8
        .value_kind:     global_buffer
      - .address_space:  global
        .offset:         8
        .size:           8
        .value_kind:     global_buffer
      - .address_space:  global
        .offset:         16
        .size:           8
        .value_kind:     global_buffer
      - .offset:         24
        .size:           4
        .value_kind:     by_value
      - .address_space:  global
        .offset:         32
        .size:           8
        .value_kind:     global_buffer
      - .offset:         40
        .size:           4
        .value_kind:     by_value
      - .address_space:  global
        .offset:         48
        .size:           8
        .value_kind:     global_buffer
      - .offset:         56
        .size:           4
        .value_kind:     by_value
      - .offset:         60
        .size:           4
        .value_kind:     by_value
      - .offset:         64
        .size:           4
        .value_kind:     by_value
      - .offset:         68
        .size:           4
        .value_kind:     by_value
      - .offset:         72
        .size:           4
        .value_kind:     by_value
      - .offset:         76
        .size:           4
        .value_kind:     by_value
      - .offset:         80
        .size:           1
        .value_kind:     by_value
      - .offset:         81
        .size:           1
        .value_kind:     by_value
      - .offset:         88
        .size:           4
        .value_kind:     hidden_block_count_x
      - .offset:         92
        .size:           4
        .value_kind:     hidden_block_count_y
      - .offset:         96
        .size:           4
        .value_kind:     hidden_block_count_z
      - .offset:         100
        .size:           2
        .value_kind:     hidden_group_size_x
      - .offset:         102
        .size:           2
        .value_kind:     hidden_group_size_y
      - .offset:         104
        .size:           2
        .value_kind:     hidden_group_size_z
      - .offset:         106
        .size:           2
        .value_kind:     hidden_remainder_x
      - .offset:         108
        .size:           2
        .value_kind:     hidden_remainder_y
      - .offset:         110
        .size:           2
        .value_kind:     hidden_remainder_z
      - .offset:         128
        .size:           8
        .value_kind:     hidden_global_offset_x
      - .offset:         136
        .size:           8
        .value_kind:     hidden_global_offset_y
      - .offset:         144
        .size:           8
        .value_kind:     hidden_global_offset_z
      - .offset:         152
        .size:           2
        .value_kind:     hidden_grid_dims
      - .offset:         168
        .size:           8
        .value_kind:     hidden_hostcall_buffer
    .group_segment_fixed_size: 0
    .kernarg_segment_align: 8
    .kernarg_segment_size: 344
    .language:       OpenCL C
    .language_version:
      - 2
      - 0
    .max_flat_workgroup_size: 1024
    .name:           Transform_I8_S_001_16_16_VW_4
    .private_segment_fixed_size: 64
    .sgpr_count:     36
    .sgpr_spill_count: 0
    .symbol:         Transform_I8_S_001_16_16_VW_4.kd
    .uniform_work_group_size: 1
    .uses_dynamic_stack: false
    .vgpr_count:     42
    .vgpr_spill_count: 0
    .wavefront_size: 32
    .workgroup_processor_mode: 1
  - .args:
      - .address_space:  global
        .offset:         0
        .size:           8
        .value_kind:     global_buffer
      - .address_space:  global
        .offset:         8
        .size:           8
        .value_kind:     global_buffer
      - .address_space:  global
        .offset:         16
        .size:           8
        .value_kind:     global_buffer
      - .offset:         24
        .size:           4
        .value_kind:     by_value
      - .address_space:  global
        .offset:         32
        .size:           8
        .value_kind:     global_buffer
      - .offset:         40
        .size:           4
        .value_kind:     by_value
      - .address_space:  global
        .offset:         48
        .size:           8
        .value_kind:     global_buffer
      - .offset:         56
        .size:           4
        .value_kind:     by_value
      - .offset:         60
        .size:           4
        .value_kind:     by_value
      - .offset:         64
        .size:           4
        .value_kind:     by_value
      - .offset:         68
        .size:           4
        .value_kind:     by_value
      - .offset:         72
        .size:           4
        .value_kind:     by_value
      - .offset:         76
        .size:           4
        .value_kind:     by_value
      - .offset:         80
        .size:           1
        .value_kind:     by_value
      - .offset:         81
        .size:           1
        .value_kind:     by_value
      - .offset:         88
        .size:           4
        .value_kind:     hidden_block_count_x
      - .offset:         92
        .size:           4
        .value_kind:     hidden_block_count_y
      - .offset:         96
        .size:           4
        .value_kind:     hidden_block_count_z
      - .offset:         100
        .size:           2
        .value_kind:     hidden_group_size_x
      - .offset:         102
        .size:           2
        .value_kind:     hidden_group_size_y
      - .offset:         104
        .size:           2
        .value_kind:     hidden_group_size_z
      - .offset:         106
        .size:           2
        .value_kind:     hidden_remainder_x
      - .offset:         108
        .size:           2
        .value_kind:     hidden_remainder_y
      - .offset:         110
        .size:           2
        .value_kind:     hidden_remainder_z
      - .offset:         128
        .size:           8
        .value_kind:     hidden_global_offset_x
      - .offset:         136
        .size:           8
        .value_kind:     hidden_global_offset_y
      - .offset:         144
        .size:           8
        .value_kind:     hidden_global_offset_z
      - .offset:         152
        .size:           2
        .value_kind:     hidden_grid_dims
      - .offset:         168
        .size:           8
        .value_kind:     hidden_hostcall_buffer
    .group_segment_fixed_size: 0
    .kernarg_segment_align: 8
    .kernarg_segment_size: 344
    .language:       OpenCL C
    .language_version:
      - 2
      - 0
    .max_flat_workgroup_size: 1024
    .name:           Transform_I8_S_000_16_16_VW_1
    .private_segment_fixed_size: 64
    .sgpr_count:     36
    .sgpr_spill_count: 0
    .symbol:         Transform_I8_S_000_16_16_VW_1.kd
    .uniform_work_group_size: 1
    .uses_dynamic_stack: false
    .vgpr_count:     42
    .vgpr_spill_count: 0
    .wavefront_size: 32
    .workgroup_processor_mode: 1
  - .args:
      - .address_space:  global
        .offset:         0
        .size:           8
        .value_kind:     global_buffer
      - .address_space:  global
        .offset:         8
        .size:           8
        .value_kind:     global_buffer
      - .address_space:  global
        .offset:         16
        .size:           8
        .value_kind:     global_buffer
      - .offset:         24
        .size:           4
        .value_kind:     by_value
      - .address_space:  global
        .offset:         32
        .size:           8
        .value_kind:     global_buffer
      - .offset:         40
        .size:           4
        .value_kind:     by_value
      - .address_space:  global
        .offset:         48
        .size:           8
        .value_kind:     global_buffer
      - .offset:         56
        .size:           4
        .value_kind:     by_value
      - .offset:         60
        .size:           4
        .value_kind:     by_value
      - .offset:         64
        .size:           4
        .value_kind:     by_value
      - .offset:         68
        .size:           4
        .value_kind:     by_value
      - .offset:         72
        .size:           4
        .value_kind:     by_value
      - .offset:         76
        .size:           4
        .value_kind:     by_value
      - .offset:         80
        .size:           1
        .value_kind:     by_value
      - .offset:         81
        .size:           1
        .value_kind:     by_value
      - .offset:         88
        .size:           4
        .value_kind:     hidden_block_count_x
      - .offset:         92
        .size:           4
        .value_kind:     hidden_block_count_y
      - .offset:         96
        .size:           4
        .value_kind:     hidden_block_count_z
      - .offset:         100
        .size:           2
        .value_kind:     hidden_group_size_x
      - .offset:         102
        .size:           2
        .value_kind:     hidden_group_size_y
      - .offset:         104
        .size:           2
        .value_kind:     hidden_group_size_z
      - .offset:         106
        .size:           2
        .value_kind:     hidden_remainder_x
      - .offset:         108
        .size:           2
        .value_kind:     hidden_remainder_y
      - .offset:         110
        .size:           2
        .value_kind:     hidden_remainder_z
      - .offset:         128
        .size:           8
        .value_kind:     hidden_global_offset_x
      - .offset:         136
        .size:           8
        .value_kind:     hidden_global_offset_y
      - .offset:         144
        .size:           8
        .value_kind:     hidden_global_offset_z
      - .offset:         152
        .size:           2
        .value_kind:     hidden_grid_dims
      - .offset:         168
        .size:           8
        .value_kind:     hidden_hostcall_buffer
    .group_segment_fixed_size: 0
    .kernarg_segment_align: 8
    .kernarg_segment_size: 344
    .language:       OpenCL C
    .language_version:
      - 2
      - 0
    .max_flat_workgroup_size: 1024
    .name:           Transform_I8_S_000_16_16_VW_4
    .private_segment_fixed_size: 64
    .sgpr_count:     36
    .sgpr_spill_count: 0
    .symbol:         Transform_I8_S_000_16_16_VW_4.kd
    .uniform_work_group_size: 1
    .uses_dynamic_stack: false
    .vgpr_count:     42
    .vgpr_spill_count: 0
    .wavefront_size: 32
    .workgroup_processor_mode: 1
  - .args:
      - .address_space:  global
        .offset:         0
        .size:           8
        .value_kind:     global_buffer
      - .address_space:  global
        .offset:         8
        .size:           8
        .value_kind:     global_buffer
      - .address_space:  global
        .offset:         16
        .size:           8
        .value_kind:     global_buffer
      - .offset:         24
        .size:           4
        .value_kind:     by_value
      - .address_space:  global
        .offset:         32
        .size:           8
        .value_kind:     global_buffer
      - .offset:         40
        .size:           4
        .value_kind:     by_value
      - .address_space:  global
        .offset:         48
        .size:           8
        .value_kind:     global_buffer
      - .offset:         56
        .size:           4
        .value_kind:     by_value
      - .offset:         60
        .size:           4
        .value_kind:     by_value
      - .offset:         64
        .size:           4
        .value_kind:     by_value
      - .offset:         68
        .size:           4
        .value_kind:     by_value
      - .offset:         72
        .size:           4
        .value_kind:     by_value
      - .offset:         76
        .size:           4
        .value_kind:     by_value
      - .offset:         80
        .size:           1
        .value_kind:     by_value
      - .offset:         81
        .size:           1
        .value_kind:     by_value
      - .offset:         88
        .size:           4
        .value_kind:     hidden_block_count_x
      - .offset:         92
        .size:           4
        .value_kind:     hidden_block_count_y
      - .offset:         96
        .size:           4
        .value_kind:     hidden_block_count_z
      - .offset:         100
        .size:           2
        .value_kind:     hidden_group_size_x
      - .offset:         102
        .size:           2
        .value_kind:     hidden_group_size_y
      - .offset:         104
        .size:           2
        .value_kind:     hidden_group_size_z
      - .offset:         106
        .size:           2
        .value_kind:     hidden_remainder_x
      - .offset:         108
        .size:           2
        .value_kind:     hidden_remainder_y
      - .offset:         110
        .size:           2
        .value_kind:     hidden_remainder_z
      - .offset:         128
        .size:           8
        .value_kind:     hidden_global_offset_x
      - .offset:         136
        .size:           8
        .value_kind:     hidden_global_offset_y
      - .offset:         144
        .size:           8
        .value_kind:     hidden_global_offset_z
      - .offset:         152
        .size:           2
        .value_kind:     hidden_grid_dims
      - .offset:         168
        .size:           8
        .value_kind:     hidden_hostcall_buffer
    .group_segment_fixed_size: 0
    .kernarg_segment_align: 8
    .kernarg_segment_size: 344
    .language:       OpenCL C
    .language_version:
      - 2
      - 0
    .max_flat_workgroup_size: 1024
    .name:           Transform_I32_S_111_16_16_VW_1
    .private_segment_fixed_size: 64
    .sgpr_count:     36
    .sgpr_spill_count: 0
    .symbol:         Transform_I32_S_111_16_16_VW_1.kd
    .uniform_work_group_size: 1
    .uses_dynamic_stack: false
    .vgpr_count:     42
    .vgpr_spill_count: 0
    .wavefront_size: 32
    .workgroup_processor_mode: 1
  - .args:
      - .address_space:  global
        .offset:         0
        .size:           8
        .value_kind:     global_buffer
      - .address_space:  global
        .offset:         8
        .size:           8
        .value_kind:     global_buffer
      - .address_space:  global
        .offset:         16
        .size:           8
        .value_kind:     global_buffer
      - .offset:         24
        .size:           4
        .value_kind:     by_value
      - .address_space:  global
        .offset:         32
        .size:           8
        .value_kind:     global_buffer
      - .offset:         40
        .size:           4
        .value_kind:     by_value
      - .address_space:  global
        .offset:         48
        .size:           8
        .value_kind:     global_buffer
      - .offset:         56
        .size:           4
        .value_kind:     by_value
      - .offset:         60
        .size:           4
        .value_kind:     by_value
      - .offset:         64
        .size:           4
        .value_kind:     by_value
      - .offset:         68
        .size:           4
        .value_kind:     by_value
      - .offset:         72
        .size:           4
        .value_kind:     by_value
      - .offset:         76
        .size:           4
        .value_kind:     by_value
      - .offset:         80
        .size:           1
        .value_kind:     by_value
      - .offset:         81
        .size:           1
        .value_kind:     by_value
      - .offset:         88
        .size:           4
        .value_kind:     hidden_block_count_x
      - .offset:         92
        .size:           4
        .value_kind:     hidden_block_count_y
      - .offset:         96
        .size:           4
        .value_kind:     hidden_block_count_z
      - .offset:         100
        .size:           2
        .value_kind:     hidden_group_size_x
      - .offset:         102
        .size:           2
        .value_kind:     hidden_group_size_y
      - .offset:         104
        .size:           2
        .value_kind:     hidden_group_size_z
      - .offset:         106
        .size:           2
        .value_kind:     hidden_remainder_x
      - .offset:         108
        .size:           2
        .value_kind:     hidden_remainder_y
      - .offset:         110
        .size:           2
        .value_kind:     hidden_remainder_z
      - .offset:         128
        .size:           8
        .value_kind:     hidden_global_offset_x
      - .offset:         136
        .size:           8
        .value_kind:     hidden_global_offset_y
      - .offset:         144
        .size:           8
        .value_kind:     hidden_global_offset_z
      - .offset:         152
        .size:           2
        .value_kind:     hidden_grid_dims
      - .offset:         168
        .size:           8
        .value_kind:     hidden_hostcall_buffer
    .group_segment_fixed_size: 0
    .kernarg_segment_align: 8
    .kernarg_segment_size: 344
    .language:       OpenCL C
    .language_version:
      - 2
      - 0
    .max_flat_workgroup_size: 1024
    .name:           Transform_I32_S_111_16_16_VW_4
    .private_segment_fixed_size: 64
    .sgpr_count:     36
    .sgpr_spill_count: 0
    .symbol:         Transform_I32_S_111_16_16_VW_4.kd
    .uniform_work_group_size: 1
    .uses_dynamic_stack: false
    .vgpr_count:     42
    .vgpr_spill_count: 0
    .wavefront_size: 32
    .workgroup_processor_mode: 1
  - .args:
      - .address_space:  global
        .offset:         0
        .size:           8
        .value_kind:     global_buffer
      - .address_space:  global
        .offset:         8
        .size:           8
        .value_kind:     global_buffer
      - .address_space:  global
        .offset:         16
        .size:           8
        .value_kind:     global_buffer
      - .offset:         24
        .size:           4
        .value_kind:     by_value
      - .address_space:  global
        .offset:         32
        .size:           8
        .value_kind:     global_buffer
      - .offset:         40
        .size:           4
        .value_kind:     by_value
      - .address_space:  global
        .offset:         48
        .size:           8
        .value_kind:     global_buffer
      - .offset:         56
        .size:           4
        .value_kind:     by_value
      - .offset:         60
        .size:           4
        .value_kind:     by_value
      - .offset:         64
        .size:           4
        .value_kind:     by_value
      - .offset:         68
        .size:           4
        .value_kind:     by_value
      - .offset:         72
        .size:           4
        .value_kind:     by_value
      - .offset:         76
        .size:           4
        .value_kind:     by_value
      - .offset:         80
        .size:           1
        .value_kind:     by_value
      - .offset:         81
        .size:           1
        .value_kind:     by_value
      - .offset:         88
        .size:           4
        .value_kind:     hidden_block_count_x
      - .offset:         92
        .size:           4
        .value_kind:     hidden_block_count_y
      - .offset:         96
        .size:           4
        .value_kind:     hidden_block_count_z
      - .offset:         100
        .size:           2
        .value_kind:     hidden_group_size_x
      - .offset:         102
        .size:           2
        .value_kind:     hidden_group_size_y
      - .offset:         104
        .size:           2
        .value_kind:     hidden_group_size_z
      - .offset:         106
        .size:           2
        .value_kind:     hidden_remainder_x
      - .offset:         108
        .size:           2
        .value_kind:     hidden_remainder_y
      - .offset:         110
        .size:           2
        .value_kind:     hidden_remainder_z
      - .offset:         128
        .size:           8
        .value_kind:     hidden_global_offset_x
      - .offset:         136
        .size:           8
        .value_kind:     hidden_global_offset_y
      - .offset:         144
        .size:           8
        .value_kind:     hidden_global_offset_z
      - .offset:         152
        .size:           2
        .value_kind:     hidden_grid_dims
      - .offset:         168
        .size:           8
        .value_kind:     hidden_hostcall_buffer
    .group_segment_fixed_size: 0
    .kernarg_segment_align: 8
    .kernarg_segment_size: 344
    .language:       OpenCL C
    .language_version:
      - 2
      - 0
    .max_flat_workgroup_size: 1024
    .name:           Transform_I32_S_110_16_16_VW_1
    .private_segment_fixed_size: 64
    .sgpr_count:     36
    .sgpr_spill_count: 0
    .symbol:         Transform_I32_S_110_16_16_VW_1.kd
    .uniform_work_group_size: 1
    .uses_dynamic_stack: false
    .vgpr_count:     42
    .vgpr_spill_count: 0
    .wavefront_size: 32
    .workgroup_processor_mode: 1
  - .args:
      - .address_space:  global
        .offset:         0
        .size:           8
        .value_kind:     global_buffer
      - .address_space:  global
        .offset:         8
        .size:           8
        .value_kind:     global_buffer
      - .address_space:  global
        .offset:         16
        .size:           8
        .value_kind:     global_buffer
      - .offset:         24
        .size:           4
        .value_kind:     by_value
      - .address_space:  global
        .offset:         32
        .size:           8
        .value_kind:     global_buffer
      - .offset:         40
        .size:           4
        .value_kind:     by_value
      - .address_space:  global
        .offset:         48
        .size:           8
        .value_kind:     global_buffer
      - .offset:         56
        .size:           4
        .value_kind:     by_value
      - .offset:         60
        .size:           4
        .value_kind:     by_value
      - .offset:         64
        .size:           4
        .value_kind:     by_value
      - .offset:         68
        .size:           4
        .value_kind:     by_value
      - .offset:         72
        .size:           4
        .value_kind:     by_value
      - .offset:         76
        .size:           4
        .value_kind:     by_value
      - .offset:         80
        .size:           1
        .value_kind:     by_value
      - .offset:         81
        .size:           1
        .value_kind:     by_value
      - .offset:         88
        .size:           4
        .value_kind:     hidden_block_count_x
      - .offset:         92
        .size:           4
        .value_kind:     hidden_block_count_y
      - .offset:         96
        .size:           4
        .value_kind:     hidden_block_count_z
      - .offset:         100
        .size:           2
        .value_kind:     hidden_group_size_x
      - .offset:         102
        .size:           2
        .value_kind:     hidden_group_size_y
      - .offset:         104
        .size:           2
        .value_kind:     hidden_group_size_z
      - .offset:         106
        .size:           2
        .value_kind:     hidden_remainder_x
      - .offset:         108
        .size:           2
        .value_kind:     hidden_remainder_y
      - .offset:         110
        .size:           2
        .value_kind:     hidden_remainder_z
      - .offset:         128
        .size:           8
        .value_kind:     hidden_global_offset_x
      - .offset:         136
        .size:           8
        .value_kind:     hidden_global_offset_y
      - .offset:         144
        .size:           8
        .value_kind:     hidden_global_offset_z
      - .offset:         152
        .size:           2
        .value_kind:     hidden_grid_dims
      - .offset:         168
        .size:           8
        .value_kind:     hidden_hostcall_buffer
    .group_segment_fixed_size: 0
    .kernarg_segment_align: 8
    .kernarg_segment_size: 344
    .language:       OpenCL C
    .language_version:
      - 2
      - 0
    .max_flat_workgroup_size: 1024
    .name:           Transform_I32_S_110_16_16_VW_4
    .private_segment_fixed_size: 64
    .sgpr_count:     36
    .sgpr_spill_count: 0
    .symbol:         Transform_I32_S_110_16_16_VW_4.kd
    .uniform_work_group_size: 1
    .uses_dynamic_stack: false
    .vgpr_count:     42
    .vgpr_spill_count: 0
    .wavefront_size: 32
    .workgroup_processor_mode: 1
  - .args:
      - .address_space:  global
        .offset:         0
        .size:           8
        .value_kind:     global_buffer
      - .address_space:  global
        .offset:         8
        .size:           8
        .value_kind:     global_buffer
      - .address_space:  global
        .offset:         16
        .size:           8
        .value_kind:     global_buffer
      - .offset:         24
        .size:           4
        .value_kind:     by_value
      - .address_space:  global
        .offset:         32
        .size:           8
        .value_kind:     global_buffer
      - .offset:         40
        .size:           4
        .value_kind:     by_value
      - .address_space:  global
        .offset:         48
        .size:           8
        .value_kind:     global_buffer
      - .offset:         56
        .size:           4
        .value_kind:     by_value
      - .offset:         60
        .size:           4
        .value_kind:     by_value
      - .offset:         64
        .size:           4
        .value_kind:     by_value
      - .offset:         68
        .size:           4
        .value_kind:     by_value
      - .offset:         72
        .size:           4
        .value_kind:     by_value
      - .offset:         76
        .size:           4
        .value_kind:     by_value
      - .offset:         80
        .size:           1
        .value_kind:     by_value
      - .offset:         81
        .size:           1
        .value_kind:     by_value
      - .offset:         88
        .size:           4
        .value_kind:     hidden_block_count_x
      - .offset:         92
        .size:           4
        .value_kind:     hidden_block_count_y
      - .offset:         96
        .size:           4
        .value_kind:     hidden_block_count_z
      - .offset:         100
        .size:           2
        .value_kind:     hidden_group_size_x
      - .offset:         102
        .size:           2
        .value_kind:     hidden_group_size_y
      - .offset:         104
        .size:           2
        .value_kind:     hidden_group_size_z
      - .offset:         106
        .size:           2
        .value_kind:     hidden_remainder_x
      - .offset:         108
        .size:           2
        .value_kind:     hidden_remainder_y
      - .offset:         110
        .size:           2
        .value_kind:     hidden_remainder_z
      - .offset:         128
        .size:           8
        .value_kind:     hidden_global_offset_x
      - .offset:         136
        .size:           8
        .value_kind:     hidden_global_offset_y
      - .offset:         144
        .size:           8
        .value_kind:     hidden_global_offset_z
      - .offset:         152
        .size:           2
        .value_kind:     hidden_grid_dims
      - .offset:         168
        .size:           8
        .value_kind:     hidden_hostcall_buffer
    .group_segment_fixed_size: 0
    .kernarg_segment_align: 8
    .kernarg_segment_size: 344
    .language:       OpenCL C
    .language_version:
      - 2
      - 0
    .max_flat_workgroup_size: 1024
    .name:           Transform_I32_S_101_16_16_VW_1
    .private_segment_fixed_size: 64
    .sgpr_count:     36
    .sgpr_spill_count: 0
    .symbol:         Transform_I32_S_101_16_16_VW_1.kd
    .uniform_work_group_size: 1
    .uses_dynamic_stack: false
    .vgpr_count:     42
    .vgpr_spill_count: 0
    .wavefront_size: 32
    .workgroup_processor_mode: 1
  - .args:
      - .address_space:  global
        .offset:         0
        .size:           8
        .value_kind:     global_buffer
      - .address_space:  global
        .offset:         8
        .size:           8
        .value_kind:     global_buffer
      - .address_space:  global
        .offset:         16
        .size:           8
        .value_kind:     global_buffer
      - .offset:         24
        .size:           4
        .value_kind:     by_value
      - .address_space:  global
        .offset:         32
        .size:           8
        .value_kind:     global_buffer
      - .offset:         40
        .size:           4
        .value_kind:     by_value
      - .address_space:  global
        .offset:         48
        .size:           8
        .value_kind:     global_buffer
      - .offset:         56
        .size:           4
        .value_kind:     by_value
      - .offset:         60
        .size:           4
        .value_kind:     by_value
      - .offset:         64
        .size:           4
        .value_kind:     by_value
      - .offset:         68
        .size:           4
        .value_kind:     by_value
      - .offset:         72
        .size:           4
        .value_kind:     by_value
      - .offset:         76
        .size:           4
        .value_kind:     by_value
      - .offset:         80
        .size:           1
        .value_kind:     by_value
      - .offset:         81
        .size:           1
        .value_kind:     by_value
      - .offset:         88
        .size:           4
        .value_kind:     hidden_block_count_x
      - .offset:         92
        .size:           4
        .value_kind:     hidden_block_count_y
      - .offset:         96
        .size:           4
        .value_kind:     hidden_block_count_z
      - .offset:         100
        .size:           2
        .value_kind:     hidden_group_size_x
      - .offset:         102
        .size:           2
        .value_kind:     hidden_group_size_y
      - .offset:         104
        .size:           2
        .value_kind:     hidden_group_size_z
      - .offset:         106
        .size:           2
        .value_kind:     hidden_remainder_x
      - .offset:         108
        .size:           2
        .value_kind:     hidden_remainder_y
      - .offset:         110
        .size:           2
        .value_kind:     hidden_remainder_z
      - .offset:         128
        .size:           8
        .value_kind:     hidden_global_offset_x
      - .offset:         136
        .size:           8
        .value_kind:     hidden_global_offset_y
      - .offset:         144
        .size:           8
        .value_kind:     hidden_global_offset_z
      - .offset:         152
        .size:           2
        .value_kind:     hidden_grid_dims
      - .offset:         168
        .size:           8
        .value_kind:     hidden_hostcall_buffer
    .group_segment_fixed_size: 0
    .kernarg_segment_align: 8
    .kernarg_segment_size: 344
    .language:       OpenCL C
    .language_version:
      - 2
      - 0
    .max_flat_workgroup_size: 1024
    .name:           Transform_I32_S_101_16_16_VW_4
    .private_segment_fixed_size: 64
    .sgpr_count:     36
    .sgpr_spill_count: 0
    .symbol:         Transform_I32_S_101_16_16_VW_4.kd
    .uniform_work_group_size: 1
    .uses_dynamic_stack: false
    .vgpr_count:     42
    .vgpr_spill_count: 0
    .wavefront_size: 32
    .workgroup_processor_mode: 1
  - .args:
      - .address_space:  global
        .offset:         0
        .size:           8
        .value_kind:     global_buffer
      - .address_space:  global
        .offset:         8
        .size:           8
        .value_kind:     global_buffer
      - .address_space:  global
        .offset:         16
        .size:           8
        .value_kind:     global_buffer
      - .offset:         24
        .size:           4
        .value_kind:     by_value
      - .address_space:  global
        .offset:         32
        .size:           8
        .value_kind:     global_buffer
      - .offset:         40
        .size:           4
        .value_kind:     by_value
      - .address_space:  global
        .offset:         48
        .size:           8
        .value_kind:     global_buffer
      - .offset:         56
        .size:           4
        .value_kind:     by_value
      - .offset:         60
        .size:           4
        .value_kind:     by_value
      - .offset:         64
        .size:           4
        .value_kind:     by_value
      - .offset:         68
        .size:           4
        .value_kind:     by_value
      - .offset:         72
        .size:           4
        .value_kind:     by_value
      - .offset:         76
        .size:           4
        .value_kind:     by_value
      - .offset:         80
        .size:           1
        .value_kind:     by_value
      - .offset:         81
        .size:           1
        .value_kind:     by_value
      - .offset:         88
        .size:           4
        .value_kind:     hidden_block_count_x
      - .offset:         92
        .size:           4
        .value_kind:     hidden_block_count_y
      - .offset:         96
        .size:           4
        .value_kind:     hidden_block_count_z
      - .offset:         100
        .size:           2
        .value_kind:     hidden_group_size_x
      - .offset:         102
        .size:           2
        .value_kind:     hidden_group_size_y
      - .offset:         104
        .size:           2
        .value_kind:     hidden_group_size_z
      - .offset:         106
        .size:           2
        .value_kind:     hidden_remainder_x
      - .offset:         108
        .size:           2
        .value_kind:     hidden_remainder_y
      - .offset:         110
        .size:           2
        .value_kind:     hidden_remainder_z
      - .offset:         128
        .size:           8
        .value_kind:     hidden_global_offset_x
      - .offset:         136
        .size:           8
        .value_kind:     hidden_global_offset_y
      - .offset:         144
        .size:           8
        .value_kind:     hidden_global_offset_z
      - .offset:         152
        .size:           2
        .value_kind:     hidden_grid_dims
      - .offset:         168
        .size:           8
        .value_kind:     hidden_hostcall_buffer
    .group_segment_fixed_size: 0
    .kernarg_segment_align: 8
    .kernarg_segment_size: 344
    .language:       OpenCL C
    .language_version:
      - 2
      - 0
    .max_flat_workgroup_size: 1024
    .name:           Transform_I32_S_100_16_16_VW_1
    .private_segment_fixed_size: 64
    .sgpr_count:     36
    .sgpr_spill_count: 0
    .symbol:         Transform_I32_S_100_16_16_VW_1.kd
    .uniform_work_group_size: 1
    .uses_dynamic_stack: false
    .vgpr_count:     42
    .vgpr_spill_count: 0
    .wavefront_size: 32
    .workgroup_processor_mode: 1
  - .args:
      - .address_space:  global
        .offset:         0
        .size:           8
        .value_kind:     global_buffer
      - .address_space:  global
        .offset:         8
        .size:           8
        .value_kind:     global_buffer
      - .address_space:  global
        .offset:         16
        .size:           8
        .value_kind:     global_buffer
      - .offset:         24
        .size:           4
        .value_kind:     by_value
      - .address_space:  global
        .offset:         32
        .size:           8
        .value_kind:     global_buffer
      - .offset:         40
        .size:           4
        .value_kind:     by_value
      - .address_space:  global
        .offset:         48
        .size:           8
        .value_kind:     global_buffer
      - .offset:         56
        .size:           4
        .value_kind:     by_value
      - .offset:         60
        .size:           4
        .value_kind:     by_value
      - .offset:         64
        .size:           4
        .value_kind:     by_value
      - .offset:         68
        .size:           4
        .value_kind:     by_value
      - .offset:         72
        .size:           4
        .value_kind:     by_value
      - .offset:         76
        .size:           4
        .value_kind:     by_value
      - .offset:         80
        .size:           1
        .value_kind:     by_value
      - .offset:         81
        .size:           1
        .value_kind:     by_value
      - .offset:         88
        .size:           4
        .value_kind:     hidden_block_count_x
      - .offset:         92
        .size:           4
        .value_kind:     hidden_block_count_y
      - .offset:         96
        .size:           4
        .value_kind:     hidden_block_count_z
      - .offset:         100
        .size:           2
        .value_kind:     hidden_group_size_x
      - .offset:         102
        .size:           2
        .value_kind:     hidden_group_size_y
      - .offset:         104
        .size:           2
        .value_kind:     hidden_group_size_z
      - .offset:         106
        .size:           2
        .value_kind:     hidden_remainder_x
      - .offset:         108
        .size:           2
        .value_kind:     hidden_remainder_y
      - .offset:         110
        .size:           2
        .value_kind:     hidden_remainder_z
      - .offset:         128
        .size:           8
        .value_kind:     hidden_global_offset_x
      - .offset:         136
        .size:           8
        .value_kind:     hidden_global_offset_y
      - .offset:         144
        .size:           8
        .value_kind:     hidden_global_offset_z
      - .offset:         152
        .size:           2
        .value_kind:     hidden_grid_dims
      - .offset:         168
        .size:           8
        .value_kind:     hidden_hostcall_buffer
    .group_segment_fixed_size: 0
    .kernarg_segment_align: 8
    .kernarg_segment_size: 344
    .language:       OpenCL C
    .language_version:
      - 2
      - 0
    .max_flat_workgroup_size: 1024
    .name:           Transform_I32_S_100_16_16_VW_4
    .private_segment_fixed_size: 64
    .sgpr_count:     36
    .sgpr_spill_count: 0
    .symbol:         Transform_I32_S_100_16_16_VW_4.kd
    .uniform_work_group_size: 1
    .uses_dynamic_stack: false
    .vgpr_count:     42
    .vgpr_spill_count: 0
    .wavefront_size: 32
    .workgroup_processor_mode: 1
  - .args:
      - .address_space:  global
        .offset:         0
        .size:           8
        .value_kind:     global_buffer
      - .address_space:  global
        .offset:         8
        .size:           8
        .value_kind:     global_buffer
      - .address_space:  global
        .offset:         16
        .size:           8
        .value_kind:     global_buffer
      - .offset:         24
        .size:           4
        .value_kind:     by_value
      - .address_space:  global
        .offset:         32
        .size:           8
        .value_kind:     global_buffer
      - .offset:         40
        .size:           4
        .value_kind:     by_value
      - .address_space:  global
        .offset:         48
        .size:           8
        .value_kind:     global_buffer
      - .offset:         56
        .size:           4
        .value_kind:     by_value
      - .offset:         60
        .size:           4
        .value_kind:     by_value
      - .offset:         64
        .size:           4
        .value_kind:     by_value
      - .offset:         68
        .size:           4
        .value_kind:     by_value
      - .offset:         72
        .size:           4
        .value_kind:     by_value
      - .offset:         76
        .size:           4
        .value_kind:     by_value
      - .offset:         80
        .size:           1
        .value_kind:     by_value
      - .offset:         81
        .size:           1
        .value_kind:     by_value
      - .offset:         88
        .size:           4
        .value_kind:     hidden_block_count_x
      - .offset:         92
        .size:           4
        .value_kind:     hidden_block_count_y
      - .offset:         96
        .size:           4
        .value_kind:     hidden_block_count_z
      - .offset:         100
        .size:           2
        .value_kind:     hidden_group_size_x
      - .offset:         102
        .size:           2
        .value_kind:     hidden_group_size_y
      - .offset:         104
        .size:           2
        .value_kind:     hidden_group_size_z
      - .offset:         106
        .size:           2
        .value_kind:     hidden_remainder_x
      - .offset:         108
        .size:           2
        .value_kind:     hidden_remainder_y
      - .offset:         110
        .size:           2
        .value_kind:     hidden_remainder_z
      - .offset:         128
        .size:           8
        .value_kind:     hidden_global_offset_x
      - .offset:         136
        .size:           8
        .value_kind:     hidden_global_offset_y
      - .offset:         144
        .size:           8
        .value_kind:     hidden_global_offset_z
      - .offset:         152
        .size:           2
        .value_kind:     hidden_grid_dims
      - .offset:         168
        .size:           8
        .value_kind:     hidden_hostcall_buffer
    .group_segment_fixed_size: 0
    .kernarg_segment_align: 8
    .kernarg_segment_size: 344
    .language:       OpenCL C
    .language_version:
      - 2
      - 0
    .max_flat_workgroup_size: 1024
    .name:           Transform_I32_S_011_16_16_VW_1
    .private_segment_fixed_size: 64
    .sgpr_count:     36
    .sgpr_spill_count: 0
    .symbol:         Transform_I32_S_011_16_16_VW_1.kd
    .uniform_work_group_size: 1
    .uses_dynamic_stack: false
    .vgpr_count:     42
    .vgpr_spill_count: 0
    .wavefront_size: 32
    .workgroup_processor_mode: 1
  - .args:
      - .address_space:  global
        .offset:         0
        .size:           8
        .value_kind:     global_buffer
      - .address_space:  global
        .offset:         8
        .size:           8
        .value_kind:     global_buffer
      - .address_space:  global
        .offset:         16
        .size:           8
        .value_kind:     global_buffer
      - .offset:         24
        .size:           4
        .value_kind:     by_value
      - .address_space:  global
        .offset:         32
        .size:           8
        .value_kind:     global_buffer
      - .offset:         40
        .size:           4
        .value_kind:     by_value
      - .address_space:  global
        .offset:         48
        .size:           8
        .value_kind:     global_buffer
      - .offset:         56
        .size:           4
        .value_kind:     by_value
      - .offset:         60
        .size:           4
        .value_kind:     by_value
      - .offset:         64
        .size:           4
        .value_kind:     by_value
      - .offset:         68
        .size:           4
        .value_kind:     by_value
      - .offset:         72
        .size:           4
        .value_kind:     by_value
      - .offset:         76
        .size:           4
        .value_kind:     by_value
      - .offset:         80
        .size:           1
        .value_kind:     by_value
      - .offset:         81
        .size:           1
        .value_kind:     by_value
      - .offset:         88
        .size:           4
        .value_kind:     hidden_block_count_x
      - .offset:         92
        .size:           4
        .value_kind:     hidden_block_count_y
      - .offset:         96
        .size:           4
        .value_kind:     hidden_block_count_z
      - .offset:         100
        .size:           2
        .value_kind:     hidden_group_size_x
      - .offset:         102
        .size:           2
        .value_kind:     hidden_group_size_y
      - .offset:         104
        .size:           2
        .value_kind:     hidden_group_size_z
      - .offset:         106
        .size:           2
        .value_kind:     hidden_remainder_x
      - .offset:         108
        .size:           2
        .value_kind:     hidden_remainder_y
      - .offset:         110
        .size:           2
        .value_kind:     hidden_remainder_z
      - .offset:         128
        .size:           8
        .value_kind:     hidden_global_offset_x
      - .offset:         136
        .size:           8
        .value_kind:     hidden_global_offset_y
      - .offset:         144
        .size:           8
        .value_kind:     hidden_global_offset_z
      - .offset:         152
        .size:           2
        .value_kind:     hidden_grid_dims
      - .offset:         168
        .size:           8
        .value_kind:     hidden_hostcall_buffer
    .group_segment_fixed_size: 0
    .kernarg_segment_align: 8
    .kernarg_segment_size: 344
    .language:       OpenCL C
    .language_version:
      - 2
      - 0
    .max_flat_workgroup_size: 1024
    .name:           Transform_I32_S_011_16_16_VW_4
    .private_segment_fixed_size: 64
    .sgpr_count:     36
    .sgpr_spill_count: 0
    .symbol:         Transform_I32_S_011_16_16_VW_4.kd
    .uniform_work_group_size: 1
    .uses_dynamic_stack: false
    .vgpr_count:     42
    .vgpr_spill_count: 0
    .wavefront_size: 32
    .workgroup_processor_mode: 1
  - .args:
      - .address_space:  global
        .offset:         0
        .size:           8
        .value_kind:     global_buffer
      - .address_space:  global
        .offset:         8
        .size:           8
        .value_kind:     global_buffer
      - .address_space:  global
        .offset:         16
        .size:           8
        .value_kind:     global_buffer
      - .offset:         24
        .size:           4
        .value_kind:     by_value
      - .address_space:  global
        .offset:         32
        .size:           8
        .value_kind:     global_buffer
      - .offset:         40
        .size:           4
        .value_kind:     by_value
      - .address_space:  global
        .offset:         48
        .size:           8
        .value_kind:     global_buffer
      - .offset:         56
        .size:           4
        .value_kind:     by_value
      - .offset:         60
        .size:           4
        .value_kind:     by_value
      - .offset:         64
        .size:           4
        .value_kind:     by_value
      - .offset:         68
        .size:           4
        .value_kind:     by_value
      - .offset:         72
        .size:           4
        .value_kind:     by_value
      - .offset:         76
        .size:           4
        .value_kind:     by_value
      - .offset:         80
        .size:           1
        .value_kind:     by_value
      - .offset:         81
        .size:           1
        .value_kind:     by_value
      - .offset:         88
        .size:           4
        .value_kind:     hidden_block_count_x
      - .offset:         92
        .size:           4
        .value_kind:     hidden_block_count_y
      - .offset:         96
        .size:           4
        .value_kind:     hidden_block_count_z
      - .offset:         100
        .size:           2
        .value_kind:     hidden_group_size_x
      - .offset:         102
        .size:           2
        .value_kind:     hidden_group_size_y
      - .offset:         104
        .size:           2
        .value_kind:     hidden_group_size_z
      - .offset:         106
        .size:           2
        .value_kind:     hidden_remainder_x
      - .offset:         108
        .size:           2
        .value_kind:     hidden_remainder_y
      - .offset:         110
        .size:           2
        .value_kind:     hidden_remainder_z
      - .offset:         128
        .size:           8
        .value_kind:     hidden_global_offset_x
      - .offset:         136
        .size:           8
        .value_kind:     hidden_global_offset_y
      - .offset:         144
        .size:           8
        .value_kind:     hidden_global_offset_z
      - .offset:         152
        .size:           2
        .value_kind:     hidden_grid_dims
      - .offset:         168
        .size:           8
        .value_kind:     hidden_hostcall_buffer
    .group_segment_fixed_size: 0
    .kernarg_segment_align: 8
    .kernarg_segment_size: 344
    .language:       OpenCL C
    .language_version:
      - 2
      - 0
    .max_flat_workgroup_size: 1024
    .name:           Transform_I32_S_010_16_16_VW_1
    .private_segment_fixed_size: 64
    .sgpr_count:     36
    .sgpr_spill_count: 0
    .symbol:         Transform_I32_S_010_16_16_VW_1.kd
    .uniform_work_group_size: 1
    .uses_dynamic_stack: false
    .vgpr_count:     42
    .vgpr_spill_count: 0
    .wavefront_size: 32
    .workgroup_processor_mode: 1
  - .args:
      - .address_space:  global
        .offset:         0
        .size:           8
        .value_kind:     global_buffer
      - .address_space:  global
        .offset:         8
        .size:           8
        .value_kind:     global_buffer
      - .address_space:  global
        .offset:         16
        .size:           8
        .value_kind:     global_buffer
      - .offset:         24
        .size:           4
        .value_kind:     by_value
      - .address_space:  global
        .offset:         32
        .size:           8
        .value_kind:     global_buffer
      - .offset:         40
        .size:           4
        .value_kind:     by_value
      - .address_space:  global
        .offset:         48
        .size:           8
        .value_kind:     global_buffer
      - .offset:         56
        .size:           4
        .value_kind:     by_value
      - .offset:         60
        .size:           4
        .value_kind:     by_value
      - .offset:         64
        .size:           4
        .value_kind:     by_value
      - .offset:         68
        .size:           4
        .value_kind:     by_value
      - .offset:         72
        .size:           4
        .value_kind:     by_value
      - .offset:         76
        .size:           4
        .value_kind:     by_value
      - .offset:         80
        .size:           1
        .value_kind:     by_value
      - .offset:         81
        .size:           1
        .value_kind:     by_value
      - .offset:         88
        .size:           4
        .value_kind:     hidden_block_count_x
      - .offset:         92
        .size:           4
        .value_kind:     hidden_block_count_y
      - .offset:         96
        .size:           4
        .value_kind:     hidden_block_count_z
      - .offset:         100
        .size:           2
        .value_kind:     hidden_group_size_x
      - .offset:         102
        .size:           2
        .value_kind:     hidden_group_size_y
      - .offset:         104
        .size:           2
        .value_kind:     hidden_group_size_z
      - .offset:         106
        .size:           2
        .value_kind:     hidden_remainder_x
      - .offset:         108
        .size:           2
        .value_kind:     hidden_remainder_y
      - .offset:         110
        .size:           2
        .value_kind:     hidden_remainder_z
      - .offset:         128
        .size:           8
        .value_kind:     hidden_global_offset_x
      - .offset:         136
        .size:           8
        .value_kind:     hidden_global_offset_y
      - .offset:         144
        .size:           8
        .value_kind:     hidden_global_offset_z
      - .offset:         152
        .size:           2
        .value_kind:     hidden_grid_dims
      - .offset:         168
        .size:           8
        .value_kind:     hidden_hostcall_buffer
    .group_segment_fixed_size: 0
    .kernarg_segment_align: 8
    .kernarg_segment_size: 344
    .language:       OpenCL C
    .language_version:
      - 2
      - 0
    .max_flat_workgroup_size: 1024
    .name:           Transform_I32_S_010_16_16_VW_4
    .private_segment_fixed_size: 64
    .sgpr_count:     36
    .sgpr_spill_count: 0
    .symbol:         Transform_I32_S_010_16_16_VW_4.kd
    .uniform_work_group_size: 1
    .uses_dynamic_stack: false
    .vgpr_count:     42
    .vgpr_spill_count: 0
    .wavefront_size: 32
    .workgroup_processor_mode: 1
  - .args:
      - .address_space:  global
        .offset:         0
        .size:           8
        .value_kind:     global_buffer
      - .address_space:  global
        .offset:         8
        .size:           8
        .value_kind:     global_buffer
      - .address_space:  global
        .offset:         16
        .size:           8
        .value_kind:     global_buffer
      - .offset:         24
        .size:           4
        .value_kind:     by_value
      - .address_space:  global
        .offset:         32
        .size:           8
        .value_kind:     global_buffer
      - .offset:         40
        .size:           4
        .value_kind:     by_value
      - .address_space:  global
        .offset:         48
        .size:           8
        .value_kind:     global_buffer
      - .offset:         56
        .size:           4
        .value_kind:     by_value
      - .offset:         60
        .size:           4
        .value_kind:     by_value
      - .offset:         64
        .size:           4
        .value_kind:     by_value
      - .offset:         68
        .size:           4
        .value_kind:     by_value
      - .offset:         72
        .size:           4
        .value_kind:     by_value
      - .offset:         76
        .size:           4
        .value_kind:     by_value
      - .offset:         80
        .size:           1
        .value_kind:     by_value
      - .offset:         81
        .size:           1
        .value_kind:     by_value
      - .offset:         88
        .size:           4
        .value_kind:     hidden_block_count_x
      - .offset:         92
        .size:           4
        .value_kind:     hidden_block_count_y
      - .offset:         96
        .size:           4
        .value_kind:     hidden_block_count_z
      - .offset:         100
        .size:           2
        .value_kind:     hidden_group_size_x
      - .offset:         102
        .size:           2
        .value_kind:     hidden_group_size_y
      - .offset:         104
        .size:           2
        .value_kind:     hidden_group_size_z
      - .offset:         106
        .size:           2
        .value_kind:     hidden_remainder_x
      - .offset:         108
        .size:           2
        .value_kind:     hidden_remainder_y
      - .offset:         110
        .size:           2
        .value_kind:     hidden_remainder_z
      - .offset:         128
        .size:           8
        .value_kind:     hidden_global_offset_x
      - .offset:         136
        .size:           8
        .value_kind:     hidden_global_offset_y
      - .offset:         144
        .size:           8
        .value_kind:     hidden_global_offset_z
      - .offset:         152
        .size:           2
        .value_kind:     hidden_grid_dims
      - .offset:         168
        .size:           8
        .value_kind:     hidden_hostcall_buffer
    .group_segment_fixed_size: 0
    .kernarg_segment_align: 8
    .kernarg_segment_size: 344
    .language:       OpenCL C
    .language_version:
      - 2
      - 0
    .max_flat_workgroup_size: 1024
    .name:           Transform_I32_S_001_16_16_VW_1
    .private_segment_fixed_size: 64
    .sgpr_count:     36
    .sgpr_spill_count: 0
    .symbol:         Transform_I32_S_001_16_16_VW_1.kd
    .uniform_work_group_size: 1
    .uses_dynamic_stack: false
    .vgpr_count:     42
    .vgpr_spill_count: 0
    .wavefront_size: 32
    .workgroup_processor_mode: 1
  - .args:
      - .address_space:  global
        .offset:         0
        .size:           8
        .value_kind:     global_buffer
      - .address_space:  global
        .offset:         8
        .size:           8
        .value_kind:     global_buffer
      - .address_space:  global
        .offset:         16
        .size:           8
        .value_kind:     global_buffer
      - .offset:         24
        .size:           4
        .value_kind:     by_value
      - .address_space:  global
        .offset:         32
        .size:           8
        .value_kind:     global_buffer
      - .offset:         40
        .size:           4
        .value_kind:     by_value
      - .address_space:  global
        .offset:         48
        .size:           8
        .value_kind:     global_buffer
      - .offset:         56
        .size:           4
        .value_kind:     by_value
      - .offset:         60
        .size:           4
        .value_kind:     by_value
      - .offset:         64
        .size:           4
        .value_kind:     by_value
      - .offset:         68
        .size:           4
        .value_kind:     by_value
      - .offset:         72
        .size:           4
        .value_kind:     by_value
      - .offset:         76
        .size:           4
        .value_kind:     by_value
      - .offset:         80
        .size:           1
        .value_kind:     by_value
      - .offset:         81
        .size:           1
        .value_kind:     by_value
      - .offset:         88
        .size:           4
        .value_kind:     hidden_block_count_x
      - .offset:         92
        .size:           4
        .value_kind:     hidden_block_count_y
      - .offset:         96
        .size:           4
        .value_kind:     hidden_block_count_z
      - .offset:         100
        .size:           2
        .value_kind:     hidden_group_size_x
      - .offset:         102
        .size:           2
        .value_kind:     hidden_group_size_y
      - .offset:         104
        .size:           2
        .value_kind:     hidden_group_size_z
      - .offset:         106
        .size:           2
        .value_kind:     hidden_remainder_x
      - .offset:         108
        .size:           2
        .value_kind:     hidden_remainder_y
      - .offset:         110
        .size:           2
        .value_kind:     hidden_remainder_z
      - .offset:         128
        .size:           8
        .value_kind:     hidden_global_offset_x
      - .offset:         136
        .size:           8
        .value_kind:     hidden_global_offset_y
      - .offset:         144
        .size:           8
        .value_kind:     hidden_global_offset_z
      - .offset:         152
        .size:           2
        .value_kind:     hidden_grid_dims
      - .offset:         168
        .size:           8
        .value_kind:     hidden_hostcall_buffer
    .group_segment_fixed_size: 0
    .kernarg_segment_align: 8
    .kernarg_segment_size: 344
    .language:       OpenCL C
    .language_version:
      - 2
      - 0
    .max_flat_workgroup_size: 1024
    .name:           Transform_I32_S_001_16_16_VW_4
    .private_segment_fixed_size: 64
    .sgpr_count:     36
    .sgpr_spill_count: 0
    .symbol:         Transform_I32_S_001_16_16_VW_4.kd
    .uniform_work_group_size: 1
    .uses_dynamic_stack: false
    .vgpr_count:     42
    .vgpr_spill_count: 0
    .wavefront_size: 32
    .workgroup_processor_mode: 1
  - .args:
      - .address_space:  global
        .offset:         0
        .size:           8
        .value_kind:     global_buffer
      - .address_space:  global
        .offset:         8
        .size:           8
        .value_kind:     global_buffer
      - .address_space:  global
        .offset:         16
        .size:           8
        .value_kind:     global_buffer
      - .offset:         24
        .size:           4
        .value_kind:     by_value
      - .address_space:  global
        .offset:         32
        .size:           8
        .value_kind:     global_buffer
      - .offset:         40
        .size:           4
        .value_kind:     by_value
      - .address_space:  global
        .offset:         48
        .size:           8
        .value_kind:     global_buffer
      - .offset:         56
        .size:           4
        .value_kind:     by_value
      - .offset:         60
        .size:           4
        .value_kind:     by_value
      - .offset:         64
        .size:           4
        .value_kind:     by_value
      - .offset:         68
        .size:           4
        .value_kind:     by_value
      - .offset:         72
        .size:           4
        .value_kind:     by_value
      - .offset:         76
        .size:           4
        .value_kind:     by_value
      - .offset:         80
        .size:           1
        .value_kind:     by_value
      - .offset:         81
        .size:           1
        .value_kind:     by_value
      - .offset:         88
        .size:           4
        .value_kind:     hidden_block_count_x
      - .offset:         92
        .size:           4
        .value_kind:     hidden_block_count_y
      - .offset:         96
        .size:           4
        .value_kind:     hidden_block_count_z
      - .offset:         100
        .size:           2
        .value_kind:     hidden_group_size_x
      - .offset:         102
        .size:           2
        .value_kind:     hidden_group_size_y
      - .offset:         104
        .size:           2
        .value_kind:     hidden_group_size_z
      - .offset:         106
        .size:           2
        .value_kind:     hidden_remainder_x
      - .offset:         108
        .size:           2
        .value_kind:     hidden_remainder_y
      - .offset:         110
        .size:           2
        .value_kind:     hidden_remainder_z
      - .offset:         128
        .size:           8
        .value_kind:     hidden_global_offset_x
      - .offset:         136
        .size:           8
        .value_kind:     hidden_global_offset_y
      - .offset:         144
        .size:           8
        .value_kind:     hidden_global_offset_z
      - .offset:         152
        .size:           2
        .value_kind:     hidden_grid_dims
      - .offset:         168
        .size:           8
        .value_kind:     hidden_hostcall_buffer
    .group_segment_fixed_size: 0
    .kernarg_segment_align: 8
    .kernarg_segment_size: 344
    .language:       OpenCL C
    .language_version:
      - 2
      - 0
    .max_flat_workgroup_size: 1024
    .name:           Transform_I32_S_000_16_16_VW_1
    .private_segment_fixed_size: 64
    .sgpr_count:     36
    .sgpr_spill_count: 0
    .symbol:         Transform_I32_S_000_16_16_VW_1.kd
    .uniform_work_group_size: 1
    .uses_dynamic_stack: false
    .vgpr_count:     42
    .vgpr_spill_count: 0
    .wavefront_size: 32
    .workgroup_processor_mode: 1
  - .args:
      - .address_space:  global
        .offset:         0
        .size:           8
        .value_kind:     global_buffer
      - .address_space:  global
        .offset:         8
        .size:           8
        .value_kind:     global_buffer
      - .address_space:  global
        .offset:         16
        .size:           8
        .value_kind:     global_buffer
      - .offset:         24
        .size:           4
        .value_kind:     by_value
      - .address_space:  global
        .offset:         32
        .size:           8
        .value_kind:     global_buffer
      - .offset:         40
        .size:           4
        .value_kind:     by_value
      - .address_space:  global
        .offset:         48
        .size:           8
        .value_kind:     global_buffer
      - .offset:         56
        .size:           4
        .value_kind:     by_value
      - .offset:         60
        .size:           4
        .value_kind:     by_value
      - .offset:         64
        .size:           4
        .value_kind:     by_value
      - .offset:         68
        .size:           4
        .value_kind:     by_value
      - .offset:         72
        .size:           4
        .value_kind:     by_value
      - .offset:         76
        .size:           4
        .value_kind:     by_value
      - .offset:         80
        .size:           1
        .value_kind:     by_value
      - .offset:         81
        .size:           1
        .value_kind:     by_value
      - .offset:         88
        .size:           4
        .value_kind:     hidden_block_count_x
      - .offset:         92
        .size:           4
        .value_kind:     hidden_block_count_y
      - .offset:         96
        .size:           4
        .value_kind:     hidden_block_count_z
      - .offset:         100
        .size:           2
        .value_kind:     hidden_group_size_x
      - .offset:         102
        .size:           2
        .value_kind:     hidden_group_size_y
      - .offset:         104
        .size:           2
        .value_kind:     hidden_group_size_z
      - .offset:         106
        .size:           2
        .value_kind:     hidden_remainder_x
      - .offset:         108
        .size:           2
        .value_kind:     hidden_remainder_y
      - .offset:         110
        .size:           2
        .value_kind:     hidden_remainder_z
      - .offset:         128
        .size:           8
        .value_kind:     hidden_global_offset_x
      - .offset:         136
        .size:           8
        .value_kind:     hidden_global_offset_y
      - .offset:         144
        .size:           8
        .value_kind:     hidden_global_offset_z
      - .offset:         152
        .size:           2
        .value_kind:     hidden_grid_dims
      - .offset:         168
        .size:           8
        .value_kind:     hidden_hostcall_buffer
    .group_segment_fixed_size: 0
    .kernarg_segment_align: 8
    .kernarg_segment_size: 344
    .language:       OpenCL C
    .language_version:
      - 2
      - 0
    .max_flat_workgroup_size: 1024
    .name:           Transform_I32_S_000_16_16_VW_4
    .private_segment_fixed_size: 64
    .sgpr_count:     36
    .sgpr_spill_count: 0
    .symbol:         Transform_I32_S_000_16_16_VW_4.kd
    .uniform_work_group_size: 1
    .uses_dynamic_stack: false
    .vgpr_count:     42
    .vgpr_spill_count: 0
    .wavefront_size: 32
    .workgroup_processor_mode: 1
amdhsa.target:   amdgcn-amd-amdhsa--gfx1100
amdhsa.version:
  - 1
  - 2
...

	.end_amdgpu_metadata
